;; amdgpu-corpus repo=ROCm/rocFFT kind=compiled arch=gfx1201 opt=O3
	.text
	.amdgcn_target "amdgcn-amd-amdhsa--gfx1201"
	.amdhsa_code_object_version 6
	.protected	fft_rtc_fwd_len1360_factors_17_5_16_wgs_255_tpt_85_halfLds_half_op_CI_CI_sbrr_dirReg ; -- Begin function fft_rtc_fwd_len1360_factors_17_5_16_wgs_255_tpt_85_halfLds_half_op_CI_CI_sbrr_dirReg
	.globl	fft_rtc_fwd_len1360_factors_17_5_16_wgs_255_tpt_85_halfLds_half_op_CI_CI_sbrr_dirReg
	.p2align	8
	.type	fft_rtc_fwd_len1360_factors_17_5_16_wgs_255_tpt_85_halfLds_half_op_CI_CI_sbrr_dirReg,@function
fft_rtc_fwd_len1360_factors_17_5_16_wgs_255_tpt_85_halfLds_half_op_CI_CI_sbrr_dirReg: ; @fft_rtc_fwd_len1360_factors_17_5_16_wgs_255_tpt_85_halfLds_half_op_CI_CI_sbrr_dirReg
; %bb.0:
	s_clause 0x1
	s_load_b128 s[12:15], s[0:1], 0x18
	s_load_b128 s[8:11], s[0:1], 0x0
	v_mul_u32_u24_e32 v1, 0x304, v0
	v_mov_b32_e32 v5, 0
	v_mov_b32_e32 v3, 0
	v_mov_b32_e32 v4, 0
	s_load_b128 s[4:7], s[0:1], 0x58
	s_wait_kmcnt 0x0
	s_load_b64 s[18:19], s[12:13], 0x0
	s_load_b64 s[16:17], s[14:15], 0x0
	v_lshrrev_b32_e32 v1, 16, v1
	v_cmp_lt_u64_e64 s2, s[10:11], 2
	v_dual_mov_b32 v16, v4 :: v_dual_mov_b32 v15, v3
	s_delay_alu instid0(VALU_DEP_3) | instskip(SKIP_1) | instid1(VALU_DEP_4)
	v_mad_co_u64_u32 v[1:2], null, ttmp9, 3, v[1:2]
	v_mov_b32_e32 v2, v5
	s_and_b32 vcc_lo, exec_lo, s2
	s_delay_alu instid0(VALU_DEP_1)
	v_dual_mov_b32 v18, v2 :: v_dual_mov_b32 v17, v1
	s_cbranch_vccnz .LBB0_8
; %bb.1:
	s_load_b64 s[2:3], s[0:1], 0x10
	v_dual_mov_b32 v3, 0 :: v_dual_mov_b32 v8, v2
	v_dual_mov_b32 v4, 0 :: v_dual_mov_b32 v7, v1
	s_add_nc_u64 s[20:21], s[14:15], 8
	s_add_nc_u64 s[22:23], s[12:13], 8
	s_mov_b64 s[24:25], 1
	s_delay_alu instid0(VALU_DEP_1)
	v_dual_mov_b32 v16, v4 :: v_dual_mov_b32 v15, v3
	s_wait_kmcnt 0x0
	s_add_nc_u64 s[26:27], s[2:3], 8
	s_mov_b32 s3, 0
.LBB0_2:                                ; =>This Inner Loop Header: Depth=1
	s_load_b64 s[28:29], s[26:27], 0x0
                                        ; implicit-def: $vgpr17_vgpr18
	s_mov_b32 s2, exec_lo
	s_wait_kmcnt 0x0
	v_or_b32_e32 v6, s29, v8
	s_delay_alu instid0(VALU_DEP_1)
	v_cmpx_ne_u64_e32 0, v[5:6]
	s_wait_alu 0xfffe
	s_xor_b32 s30, exec_lo, s2
	s_cbranch_execz .LBB0_4
; %bb.3:                                ;   in Loop: Header=BB0_2 Depth=1
	s_cvt_f32_u32 s2, s28
	s_cvt_f32_u32 s31, s29
	s_sub_nc_u64 s[36:37], 0, s[28:29]
	s_wait_alu 0xfffe
	s_delay_alu instid0(SALU_CYCLE_1) | instskip(SKIP_1) | instid1(SALU_CYCLE_2)
	s_fmamk_f32 s2, s31, 0x4f800000, s2
	s_wait_alu 0xfffe
	v_s_rcp_f32 s2, s2
	s_delay_alu instid0(TRANS32_DEP_1) | instskip(SKIP_1) | instid1(SALU_CYCLE_2)
	s_mul_f32 s2, s2, 0x5f7ffffc
	s_wait_alu 0xfffe
	s_mul_f32 s31, s2, 0x2f800000
	s_wait_alu 0xfffe
	s_delay_alu instid0(SALU_CYCLE_2) | instskip(SKIP_1) | instid1(SALU_CYCLE_2)
	s_trunc_f32 s31, s31
	s_wait_alu 0xfffe
	s_fmamk_f32 s2, s31, 0xcf800000, s2
	s_cvt_u32_f32 s35, s31
	s_wait_alu 0xfffe
	s_delay_alu instid0(SALU_CYCLE_1) | instskip(SKIP_1) | instid1(SALU_CYCLE_2)
	s_cvt_u32_f32 s34, s2
	s_wait_alu 0xfffe
	s_mul_u64 s[38:39], s[36:37], s[34:35]
	s_wait_alu 0xfffe
	s_mul_hi_u32 s41, s34, s39
	s_mul_i32 s40, s34, s39
	s_mul_hi_u32 s2, s34, s38
	s_mul_i32 s33, s35, s38
	s_wait_alu 0xfffe
	s_add_nc_u64 s[40:41], s[2:3], s[40:41]
	s_mul_hi_u32 s31, s35, s38
	s_mul_hi_u32 s42, s35, s39
	s_add_co_u32 s2, s40, s33
	s_wait_alu 0xfffe
	s_add_co_ci_u32 s2, s41, s31
	s_mul_i32 s38, s35, s39
	s_add_co_ci_u32 s39, s42, 0
	s_wait_alu 0xfffe
	s_add_nc_u64 s[38:39], s[2:3], s[38:39]
	s_wait_alu 0xfffe
	v_add_co_u32 v2, s2, s34, s38
	s_delay_alu instid0(VALU_DEP_1) | instskip(SKIP_1) | instid1(VALU_DEP_1)
	s_cmp_lg_u32 s2, 0
	s_add_co_ci_u32 s35, s35, s39
	v_readfirstlane_b32 s34, v2
	s_wait_alu 0xfffe
	s_delay_alu instid0(VALU_DEP_1)
	s_mul_u64 s[36:37], s[36:37], s[34:35]
	s_wait_alu 0xfffe
	s_mul_hi_u32 s39, s34, s37
	s_mul_i32 s38, s34, s37
	s_mul_hi_u32 s2, s34, s36
	s_mul_i32 s33, s35, s36
	s_wait_alu 0xfffe
	s_add_nc_u64 s[38:39], s[2:3], s[38:39]
	s_mul_hi_u32 s31, s35, s36
	s_mul_hi_u32 s34, s35, s37
	s_wait_alu 0xfffe
	s_add_co_u32 s2, s38, s33
	s_add_co_ci_u32 s2, s39, s31
	s_mul_i32 s36, s35, s37
	s_add_co_ci_u32 s37, s34, 0
	s_wait_alu 0xfffe
	s_add_nc_u64 s[36:37], s[2:3], s[36:37]
	s_wait_alu 0xfffe
	v_add_co_u32 v2, s2, v2, s36
	s_delay_alu instid0(VALU_DEP_1) | instskip(SKIP_1) | instid1(VALU_DEP_1)
	s_cmp_lg_u32 s2, 0
	s_add_co_ci_u32 s2, s35, s37
	v_mul_hi_u32 v6, v7, v2
	s_wait_alu 0xfffe
	v_mad_co_u64_u32 v[9:10], null, v7, s2, 0
	v_mad_co_u64_u32 v[11:12], null, v8, v2, 0
	;; [unrolled: 1-line block ×3, first 2 shown]
	s_delay_alu instid0(VALU_DEP_3) | instskip(SKIP_1) | instid1(VALU_DEP_4)
	v_add_co_u32 v2, vcc_lo, v6, v9
	s_wait_alu 0xfffd
	v_add_co_ci_u32_e32 v6, vcc_lo, 0, v10, vcc_lo
	s_delay_alu instid0(VALU_DEP_2) | instskip(SKIP_1) | instid1(VALU_DEP_2)
	v_add_co_u32 v2, vcc_lo, v2, v11
	s_wait_alu 0xfffd
	v_add_co_ci_u32_e32 v2, vcc_lo, v6, v12, vcc_lo
	s_wait_alu 0xfffd
	v_add_co_ci_u32_e32 v6, vcc_lo, 0, v14, vcc_lo
	s_delay_alu instid0(VALU_DEP_2) | instskip(SKIP_1) | instid1(VALU_DEP_2)
	v_add_co_u32 v2, vcc_lo, v2, v13
	s_wait_alu 0xfffd
	v_add_co_ci_u32_e32 v6, vcc_lo, 0, v6, vcc_lo
	s_delay_alu instid0(VALU_DEP_2) | instskip(SKIP_1) | instid1(VALU_DEP_3)
	v_mul_lo_u32 v11, s29, v2
	v_mad_co_u64_u32 v[9:10], null, s28, v2, 0
	v_mul_lo_u32 v12, s28, v6
	s_delay_alu instid0(VALU_DEP_2) | instskip(NEXT) | instid1(VALU_DEP_2)
	v_sub_co_u32 v9, vcc_lo, v7, v9
	v_add3_u32 v10, v10, v12, v11
	s_delay_alu instid0(VALU_DEP_1) | instskip(SKIP_1) | instid1(VALU_DEP_1)
	v_sub_nc_u32_e32 v11, v8, v10
	s_wait_alu 0xfffd
	v_subrev_co_ci_u32_e64 v11, s2, s29, v11, vcc_lo
	v_add_co_u32 v12, s2, v2, 2
	s_wait_alu 0xf1ff
	v_add_co_ci_u32_e64 v13, s2, 0, v6, s2
	v_sub_co_u32 v14, s2, v9, s28
	v_sub_co_ci_u32_e32 v10, vcc_lo, v8, v10, vcc_lo
	s_wait_alu 0xf1ff
	v_subrev_co_ci_u32_e64 v11, s2, 0, v11, s2
	s_delay_alu instid0(VALU_DEP_3) | instskip(NEXT) | instid1(VALU_DEP_3)
	v_cmp_le_u32_e32 vcc_lo, s28, v14
	v_cmp_eq_u32_e64 s2, s29, v10
	s_wait_alu 0xfffd
	v_cndmask_b32_e64 v14, 0, -1, vcc_lo
	v_cmp_le_u32_e32 vcc_lo, s29, v11
	s_wait_alu 0xfffd
	v_cndmask_b32_e64 v17, 0, -1, vcc_lo
	v_cmp_le_u32_e32 vcc_lo, s28, v9
	;; [unrolled: 3-line block ×3, first 2 shown]
	s_wait_alu 0xfffd
	v_cndmask_b32_e64 v18, 0, -1, vcc_lo
	v_cmp_eq_u32_e32 vcc_lo, s29, v11
	s_wait_alu 0xf1ff
	s_delay_alu instid0(VALU_DEP_2)
	v_cndmask_b32_e64 v9, v18, v9, s2
	s_wait_alu 0xfffd
	v_cndmask_b32_e32 v11, v17, v14, vcc_lo
	v_add_co_u32 v14, vcc_lo, v2, 1
	s_wait_alu 0xfffd
	v_add_co_ci_u32_e32 v17, vcc_lo, 0, v6, vcc_lo
	s_delay_alu instid0(VALU_DEP_3) | instskip(SKIP_1) | instid1(VALU_DEP_2)
	v_cmp_ne_u32_e32 vcc_lo, 0, v11
	s_wait_alu 0xfffd
	v_dual_cndmask_b32 v10, v17, v13 :: v_dual_cndmask_b32 v11, v14, v12
	v_cmp_ne_u32_e32 vcc_lo, 0, v9
	s_wait_alu 0xfffd
	s_delay_alu instid0(VALU_DEP_2) | instskip(NEXT) | instid1(VALU_DEP_3)
	v_cndmask_b32_e32 v18, v6, v10, vcc_lo
	v_cndmask_b32_e32 v17, v2, v11, vcc_lo
.LBB0_4:                                ;   in Loop: Header=BB0_2 Depth=1
	s_wait_alu 0xfffe
	s_and_not1_saveexec_b32 s2, s30
	s_cbranch_execz .LBB0_6
; %bb.5:                                ;   in Loop: Header=BB0_2 Depth=1
	v_cvt_f32_u32_e32 v2, s28
	s_sub_co_i32 s30, 0, s28
	v_mov_b32_e32 v18, v5
	s_delay_alu instid0(VALU_DEP_2) | instskip(NEXT) | instid1(TRANS32_DEP_1)
	v_rcp_iflag_f32_e32 v2, v2
	v_mul_f32_e32 v2, 0x4f7ffffe, v2
	s_delay_alu instid0(VALU_DEP_1) | instskip(SKIP_1) | instid1(VALU_DEP_1)
	v_cvt_u32_f32_e32 v2, v2
	s_wait_alu 0xfffe
	v_mul_lo_u32 v6, s30, v2
	s_delay_alu instid0(VALU_DEP_1) | instskip(NEXT) | instid1(VALU_DEP_1)
	v_mul_hi_u32 v6, v2, v6
	v_add_nc_u32_e32 v2, v2, v6
	s_delay_alu instid0(VALU_DEP_1) | instskip(NEXT) | instid1(VALU_DEP_1)
	v_mul_hi_u32 v2, v7, v2
	v_mul_lo_u32 v6, v2, s28
	v_add_nc_u32_e32 v9, 1, v2
	s_delay_alu instid0(VALU_DEP_2) | instskip(NEXT) | instid1(VALU_DEP_1)
	v_sub_nc_u32_e32 v6, v7, v6
	v_subrev_nc_u32_e32 v10, s28, v6
	v_cmp_le_u32_e32 vcc_lo, s28, v6
	s_wait_alu 0xfffd
	s_delay_alu instid0(VALU_DEP_2) | instskip(SKIP_1) | instid1(VALU_DEP_2)
	v_cndmask_b32_e32 v6, v6, v10, vcc_lo
	v_cndmask_b32_e32 v2, v2, v9, vcc_lo
	v_cmp_le_u32_e32 vcc_lo, s28, v6
	s_delay_alu instid0(VALU_DEP_2) | instskip(SKIP_1) | instid1(VALU_DEP_1)
	v_add_nc_u32_e32 v9, 1, v2
	s_wait_alu 0xfffd
	v_cndmask_b32_e32 v17, v2, v9, vcc_lo
.LBB0_6:                                ;   in Loop: Header=BB0_2 Depth=1
	s_wait_alu 0xfffe
	s_or_b32 exec_lo, exec_lo, s2
	v_mul_lo_u32 v2, v18, s28
	s_delay_alu instid0(VALU_DEP_2)
	v_mul_lo_u32 v6, v17, s29
	s_load_b64 s[30:31], s[22:23], 0x0
	v_mad_co_u64_u32 v[9:10], null, v17, s28, 0
	s_load_b64 s[28:29], s[20:21], 0x0
	s_add_nc_u64 s[24:25], s[24:25], 1
	s_add_nc_u64 s[20:21], s[20:21], 8
	s_wait_alu 0xfffe
	v_cmp_ge_u64_e64 s2, s[24:25], s[10:11]
	s_add_nc_u64 s[22:23], s[22:23], 8
	s_add_nc_u64 s[26:27], s[26:27], 8
	v_add3_u32 v2, v10, v6, v2
	v_sub_co_u32 v6, vcc_lo, v7, v9
	s_wait_alu 0xfffd
	s_delay_alu instid0(VALU_DEP_2) | instskip(SKIP_2) | instid1(VALU_DEP_1)
	v_sub_co_ci_u32_e32 v2, vcc_lo, v8, v2, vcc_lo
	s_and_b32 vcc_lo, exec_lo, s2
	s_wait_kmcnt 0x0
	v_mul_lo_u32 v7, s30, v2
	v_mul_lo_u32 v8, s31, v6
	v_mad_co_u64_u32 v[3:4], null, s30, v6, v[3:4]
	v_mul_lo_u32 v2, s28, v2
	v_mul_lo_u32 v9, s29, v6
	v_mad_co_u64_u32 v[15:16], null, s28, v6, v[15:16]
	s_delay_alu instid0(VALU_DEP_4) | instskip(NEXT) | instid1(VALU_DEP_2)
	v_add3_u32 v4, v8, v4, v7
	v_add3_u32 v16, v9, v16, v2
	s_wait_alu 0xfffe
	s_cbranch_vccnz .LBB0_8
; %bb.7:                                ;   in Loop: Header=BB0_2 Depth=1
	v_dual_mov_b32 v7, v17 :: v_dual_mov_b32 v8, v18
	s_branch .LBB0_2
.LBB0_8:
	s_load_b64 s[0:1], s[0:1], 0x28
	s_lshl_b64 s[10:11], s[10:11], 3
	v_mul_hi_u32 v2, 0x3030304, v0
	s_wait_alu 0xfffe
	s_add_nc_u64 s[2:3], s[14:15], s[10:11]
	v_mov_b32_e32 v31, 0
	s_load_b64 s[2:3], s[2:3], 0x0
                                        ; implicit-def: $vgpr52
                                        ; implicit-def: $vgpr45
                                        ; implicit-def: $vgpr51
                                        ; implicit-def: $vgpr44
                                        ; implicit-def: $vgpr50
                                        ; implicit-def: $vgpr43
                                        ; implicit-def: $vgpr49
                                        ; implicit-def: $vgpr42
                                        ; implicit-def: $vgpr48
                                        ; implicit-def: $vgpr41
                                        ; implicit-def: $vgpr47
                                        ; implicit-def: $vgpr40
                                        ; implicit-def: $vgpr46
                                        ; implicit-def: $vgpr39
                                        ; implicit-def: $vgpr37
                                        ; implicit-def: $vgpr38
                                        ; implicit-def: $vgpr53
                                        ; implicit-def: $vgpr36
                                        ; implicit-def: $vgpr54
                                        ; implicit-def: $vgpr35
                                        ; implicit-def: $vgpr55
                                        ; implicit-def: $vgpr34
                                        ; implicit-def: $vgpr56
                                        ; implicit-def: $vgpr33
                                        ; implicit-def: $vgpr57
                                        ; implicit-def: $vgpr32
                                        ; implicit-def: $vgpr58
                                        ; implicit-def: $vgpr30
                                        ; implicit-def: $vgpr59
                                        ; implicit-def: $vgpr29
                                        ; implicit-def: $vgpr60
	v_mov_b32_e32 v19, 0
	s_delay_alu instid0(VALU_DEP_3) | instskip(SKIP_1) | instid1(VALU_DEP_2)
	v_mul_u32_u24_e32 v5, 0x55, v2
	v_mov_b32_e32 v2, 0
	v_sub_nc_u32_e32 v5, v0, v5
	s_wait_kmcnt 0x0
	v_cmp_gt_u64_e32 vcc_lo, s[0:1], v[17:18]
	s_and_saveexec_b32 s1, vcc_lo
	s_cbranch_execz .LBB0_12
; %bb.9:
	v_cmp_gt_u32_e64 s0, 0x50, v5
	v_dual_mov_b32 v31, 0 :: v_dual_mov_b32 v2, 0
                                        ; implicit-def: $vgpr60
                                        ; implicit-def: $vgpr29
                                        ; implicit-def: $vgpr59
                                        ; implicit-def: $vgpr30
                                        ; implicit-def: $vgpr58
                                        ; implicit-def: $vgpr32
                                        ; implicit-def: $vgpr57
                                        ; implicit-def: $vgpr33
                                        ; implicit-def: $vgpr56
                                        ; implicit-def: $vgpr34
                                        ; implicit-def: $vgpr55
                                        ; implicit-def: $vgpr35
                                        ; implicit-def: $vgpr54
                                        ; implicit-def: $vgpr36
                                        ; implicit-def: $vgpr53
                                        ; implicit-def: $vgpr38
                                        ; implicit-def: $vgpr37
                                        ; implicit-def: $vgpr39
                                        ; implicit-def: $vgpr46
                                        ; implicit-def: $vgpr40
                                        ; implicit-def: $vgpr47
                                        ; implicit-def: $vgpr41
                                        ; implicit-def: $vgpr48
                                        ; implicit-def: $vgpr42
                                        ; implicit-def: $vgpr49
                                        ; implicit-def: $vgpr43
                                        ; implicit-def: $vgpr50
                                        ; implicit-def: $vgpr44
                                        ; implicit-def: $vgpr51
                                        ; implicit-def: $vgpr45
                                        ; implicit-def: $vgpr52
	s_delay_alu instid0(VALU_DEP_2)
	s_and_saveexec_b32 s14, s0
	s_cbranch_execz .LBB0_11
; %bb.10:
	s_add_nc_u64 s[10:11], s[12:13], s[10:11]
	v_mad_co_u64_u32 v[6:7], null, s18, v5, 0
	s_load_b64 s[10:11], s[10:11], 0x0
	v_add_nc_u32_e32 v27, 0x140, v5
	v_add_nc_u32_e32 v26, 0xf0, v5
	v_lshlrev_b64_e32 v[2:3], 2, v[3:4]
	s_delay_alu instid0(VALU_DEP_4) | instskip(NEXT) | instid1(VALU_DEP_3)
	v_mov_b32_e32 v0, v7
	v_mad_co_u64_u32 v[12:13], null, s18, v26, 0
	v_add_nc_u32_e32 v14, 0x50, v5
	s_delay_alu instid0(VALU_DEP_3) | instskip(SKIP_1) | instid1(VALU_DEP_3)
	v_mad_co_u64_u32 v[21:22], null, s19, v5, v[0:1]
	v_add_nc_u32_e32 v24, 0xa0, v5
	v_mad_co_u64_u32 v[8:9], null, s18, v14, 0
	v_mad_co_u64_u32 v[22:23], null, s18, v27, 0
	s_wait_kmcnt 0x0
	v_mul_lo_u32 v7, s11, v17
	v_mul_lo_u32 v25, s10, v18
	v_mad_co_u64_u32 v[19:20], null, s10, v17, 0
	s_delay_alu instid0(VALU_DEP_1) | instskip(SKIP_2) | instid1(VALU_DEP_3)
	v_add3_u32 v20, v20, v25, v7
	v_mov_b32_e32 v7, v21
	v_mad_co_u64_u32 v[10:11], null, s18, v24, 0
	v_lshlrev_b64_e32 v[19:20], 2, v[19:20]
	s_delay_alu instid0(VALU_DEP_3) | instskip(NEXT) | instid1(VALU_DEP_3)
	v_lshlrev_b64_e32 v[6:7], 2, v[6:7]
	v_mov_b32_e32 v4, v11
	s_delay_alu instid0(VALU_DEP_1) | instskip(SKIP_1) | instid1(VALU_DEP_2)
	v_mad_co_u64_u32 v[24:25], null, s19, v24, v[4:5]
	v_dual_mov_b32 v0, v9 :: v_dual_mov_b32 v9, v13
	v_mov_b32_e32 v11, v24
	s_delay_alu instid0(VALU_DEP_2) | instskip(SKIP_1) | instid1(VALU_DEP_4)
	v_mad_co_u64_u32 v[13:14], null, s19, v14, v[0:1]
	v_add_co_u32 v0, s0, s4, v19
	v_mad_co_u64_u32 v[25:26], null, s19, v26, v[9:10]
	s_wait_alu 0xf1ff
	v_add_co_ci_u32_e64 v4, s0, s5, v20, s0
	s_delay_alu instid0(VALU_DEP_4)
	v_mov_b32_e32 v9, v13
	v_add_co_u32 v37, s0, v0, v2
	v_mov_b32_e32 v0, v23
	s_wait_alu 0xf1ff
	v_add_co_ci_u32_e64 v46, s0, v4, v3, s0
	v_lshlrev_b64_e32 v[2:3], 2, v[8:9]
	v_add_co_u32 v6, s0, v37, v6
	v_mad_co_u64_u32 v[19:20], null, s19, v27, v[0:1]
	v_add_nc_u32_e32 v4, 0x190, v5
	s_wait_alu 0xf1ff
	v_add_co_ci_u32_e64 v7, s0, v46, v7, s0
	v_add_co_u32 v8, s0, v37, v2
	s_wait_alu 0xf1ff
	v_add_co_ci_u32_e64 v9, s0, v46, v3, s0
	v_mov_b32_e32 v23, v19
	v_lshlrev_b64_e32 v[2:3], 2, v[10:11]
	v_mad_co_u64_u32 v[10:11], null, s18, v4, 0
	v_dual_mov_b32 v13, v25 :: v_dual_add_nc_u32 v14, 0x1e0, v5
	v_add_nc_u32_e32 v19, 0x320, v5
	s_delay_alu instid0(VALU_DEP_4)
	v_add_co_u32 v20, s0, v37, v2
	s_wait_alu 0xf1ff
	v_add_co_ci_u32_e64 v21, s0, v46, v3, s0
	v_lshlrev_b64_e32 v[2:3], 2, v[12:13]
	v_mad_co_u64_u32 v[12:13], null, s18, v14, 0
	v_mov_b32_e32 v0, v11
	s_delay_alu instid0(VALU_DEP_1) | instskip(NEXT) | instid1(VALU_DEP_3)
	v_mad_co_u64_u32 v[24:25], null, s19, v4, v[0:1]
	v_mov_b32_e32 v0, v13
	v_add_co_u32 v25, s0, v37, v2
	v_add_nc_u32_e32 v4, 0x230, v5
	s_wait_alu 0xf1ff
	v_add_co_ci_u32_e64 v26, s0, v46, v3, s0
	v_lshlrev_b64_e32 v[2:3], 2, v[22:23]
	v_mad_co_u64_u32 v[13:14], null, s19, v14, v[0:1]
	v_mov_b32_e32 v11, v24
	v_mad_co_u64_u32 v[22:23], null, s18, v4, 0
	v_or_b32_e32 v14, 0x280, v5
	v_add_co_u32 v27, s0, v37, v2
	s_wait_alu 0xf1ff
	v_add_co_ci_u32_e64 v28, s0, v46, v3, s0
	v_lshlrev_b64_e32 v[2:3], 2, v[10:11]
	v_mad_co_u64_u32 v[10:11], null, s18, v14, 0
	v_mov_b32_e32 v0, v23
	s_delay_alu instid0(VALU_DEP_3) | instskip(NEXT) | instid1(VALU_DEP_2)
	v_add_co_u32 v29, s0, v37, v2
	v_mad_co_u64_u32 v[23:24], null, s19, v4, v[0:1]
	s_delay_alu instid0(VALU_DEP_4)
	v_mov_b32_e32 v0, v11
	v_add_nc_u32_e32 v4, 0x2d0, v5
	s_wait_alu 0xf1ff
	v_add_co_ci_u32_e64 v30, s0, v46, v3, s0
	v_lshlrev_b64_e32 v[2:3], 2, v[12:13]
	v_mad_co_u64_u32 v[11:12], null, s19, v14, v[0:1]
	v_mad_co_u64_u32 v[12:13], null, s18, v4, 0
	s_delay_alu instid0(VALU_DEP_3) | instskip(SKIP_1) | instid1(VALU_DEP_4)
	v_add_co_u32 v31, s0, v37, v2
	s_wait_alu 0xf1ff
	v_add_co_ci_u32_e64 v32, s0, v46, v3, s0
	v_lshlrev_b64_e32 v[2:3], 2, v[22:23]
	s_delay_alu instid0(VALU_DEP_4) | instskip(SKIP_2) | instid1(VALU_DEP_3)
	v_mov_b32_e32 v0, v13
	v_mad_co_u64_u32 v[22:23], null, s18, v19, 0
	v_lshlrev_b64_e32 v[10:11], 2, v[10:11]
	v_mad_co_u64_u32 v[13:14], null, s19, v4, v[0:1]
	v_add_nc_u32_e32 v14, 0x370, v5
	v_add_co_u32 v33, s0, v37, v2
	v_mov_b32_e32 v0, v23
	s_wait_alu 0xf1ff
	v_add_co_ci_u32_e64 v34, s0, v46, v3, s0
	v_mad_co_u64_u32 v[35:36], null, s18, v14, 0
	v_add_co_u32 v3, s0, v37, v10
	s_wait_alu 0xf1ff
	v_add_co_ci_u32_e64 v4, s0, v46, v11, s0
	v_mad_co_u64_u32 v[10:11], null, s19, v19, v[0:1]
	s_delay_alu instid0(VALU_DEP_4)
	v_mov_b32_e32 v0, v36
	s_clause 0x8
	global_load_b32 v2, v[6:7], off
	global_load_b32 v45, v[8:9], off
	;; [unrolled: 1-line block ×9, first 2 shown]
	v_lshlrev_b64_e32 v[3:4], 2, v[12:13]
	v_add_nc_u32_e32 v13, 0x3c0, v5
	v_add_nc_u32_e32 v26, 0x4b0, v5
	v_mad_co_u64_u32 v[6:7], null, s19, v14, v[0:1]
	v_mov_b32_e32 v23, v10
	s_delay_alu instid0(VALU_DEP_4) | instskip(SKIP_2) | instid1(VALU_DEP_4)
	v_mad_co_u64_u32 v[7:8], null, s18, v13, 0
	v_or_b32_e32 v28, 0x500, v5
	v_add_co_u32 v3, s0, v37, v3
	v_lshlrev_b64_e32 v[9:10], 2, v[22:23]
	v_dual_mov_b32 v36, v6 :: v_dual_add_nc_u32 v23, 0x410, v5
	v_mov_b32_e32 v0, v8
	v_add_nc_u32_e32 v6, 0x460, v5
	s_wait_alu 0xf1ff
	v_add_co_ci_u32_e64 v4, s0, v46, v4, s0
	v_mad_co_u64_u32 v[11:12], null, s18, v23, 0
	v_mad_co_u64_u32 v[13:14], null, s19, v13, v[0:1]
	;; [unrolled: 1-line block ×3, first 2 shown]
	v_lshlrev_b64_e32 v[21:22], 2, v[35:36]
	v_add_co_u32 v9, s0, v37, v9
	v_mov_b32_e32 v0, v12
	v_mov_b32_e32 v8, v13
	s_wait_alu 0xf1ff
	v_add_co_ci_u32_e64 v10, s0, v46, v10, s0
	v_add_co_u32 v21, s0, v37, v21
	v_mad_co_u64_u32 v[12:13], null, s19, v23, v[0:1]
	v_mov_b32_e32 v0, v20
	v_mad_co_u64_u32 v[13:14], null, s18, v26, 0
	s_wait_alu 0xf1ff
	v_add_co_ci_u32_e64 v22, s0, v46, v22, s0
	s_delay_alu instid0(VALU_DEP_3) | instskip(SKIP_1) | instid1(VALU_DEP_4)
	v_mad_co_u64_u32 v[23:24], null, s19, v6, v[0:1]
	v_mad_co_u64_u32 v[24:25], null, s18, v28, 0
	v_mov_b32_e32 v0, v14
	v_lshlrev_b64_e32 v[6:7], 2, v[7:8]
	v_lshlrev_b64_e32 v[11:12], 2, v[11:12]
	v_mov_b32_e32 v20, v23
	s_delay_alu instid0(VALU_DEP_4) | instskip(SKIP_2) | instid1(VALU_DEP_4)
	v_mad_co_u64_u32 v[26:27], null, s19, v26, v[0:1]
	v_mov_b32_e32 v0, v25
	v_add_co_u32 v6, s0, v37, v6
	v_lshlrev_b64_e32 v[19:20], 2, v[19:20]
	s_wait_alu 0xf1ff
	v_add_co_ci_u32_e64 v7, s0, v46, v7, s0
	v_mad_co_u64_u32 v[27:28], null, s19, v28, v[0:1]
	v_mov_b32_e32 v14, v26
	v_add_co_u32 v11, s0, v37, v11
	s_wait_alu 0xf1ff
	v_add_co_ci_u32_e64 v12, s0, v46, v12, s0
	s_delay_alu instid0(VALU_DEP_3) | instskip(SKIP_4) | instid1(VALU_DEP_3)
	v_lshlrev_b64_e32 v[13:14], 2, v[13:14]
	v_mov_b32_e32 v25, v27
	v_add_co_u32 v19, s0, v37, v19
	s_wait_alu 0xf1ff
	v_add_co_ci_u32_e64 v20, s0, v46, v20, s0
	v_lshlrev_b64_e32 v[23:24], 2, v[24:25]
	v_add_co_u32 v13, s0, v37, v13
	s_wait_alu 0xf1ff
	v_add_co_ci_u32_e64 v14, s0, v46, v14, s0
	s_delay_alu instid0(VALU_DEP_3)
	v_add_co_u32 v23, s0, v37, v23
	s_wait_alu 0xf1ff
	v_add_co_ci_u32_e64 v24, s0, v46, v24, s0
	s_clause 0x7
	global_load_b32 v54, v[9:10], off
	global_load_b32 v55, v[21:22], off
	;; [unrolled: 1-line block ×8, first 2 shown]
	s_wait_loadcnt 0xf
	v_lshrrev_b32_e32 v52, 16, v45
	s_wait_loadcnt 0xe
	v_lshrrev_b32_e32 v51, 16, v44
	;; [unrolled: 2-line block ×15, first 2 shown]
	s_wait_loadcnt 0x0
	v_perm_b32 v31, v2, v53, 0x7060302
.LBB0_11:
	s_or_b32 exec_lo, exec_lo, s14
	v_mov_b32_e32 v19, v5
.LBB0_12:
	s_wait_alu 0xfffe
	s_or_b32 exec_lo, exec_lo, s1
	v_add_f16_e32 v14, v45, v60
	v_sub_f16_e32 v20, v52, v29
	v_add_f16_e32 v13, v44, v59
	v_sub_f16_e32 v22, v51, v30
	v_add_f16_e32 v23, v43, v58
	v_pk_mul_f16 v10, 0x3b7639e9, v14 op_sel_hi:[1,0]
	v_sub_f16_e32 v21, v50, v32
	v_pk_mul_f16 v11, 0x39e92de8, v13 op_sel_hi:[1,0]
	v_add_f16_e32 v25, v42, v57
	v_pk_mul_f16 v12, 0x3722b8d2, v23 op_sel_hi:[1,0]
	v_pk_fma_f16 v3, 0xb5c8b964, v20, v10 op_sel_hi:[1,0,1]
	v_sub_f16_e32 v24, v49, v33
	v_pk_fma_f16 v4, 0xb964bbf7, v22, v11 op_sel_hi:[1,0,1]
	v_add_f16_e32 v27, v41, v56
	v_pk_mul_f16 v7, 0x2de8bbdd, v25 op_sel_hi:[1,0]
	v_pk_add_f16 v3, v2, v3 op_sel_hi:[0,1]
	v_pk_fma_f16 v6, 0xbb29ba62, v21, v12 op_sel_hi:[1,0,1]
	v_mul_hi_u32 v0, 0xaaaaaaab, v1
	v_sub_f16_e32 v26, v48, v34
	v_add_f16_e32 v61, v40, v55
	v_pk_add_f16 v3, v4, v3
	v_pk_mul_f16 v8, 0xb461bacd, v27 op_sel_hi:[1,0]
	v_pk_fma_f16 v4, 0xbbf7b1e1, v24, v7 op_sel_hi:[1,0,1]
	v_sub_f16_e32 v28, v47, v35
	v_add_f16_e32 v63, v39, v54
	v_pk_add_f16 v3, v6, v3
	v_pk_mul_f16 v9, 0xb8d2b461, v61 op_sel_hi:[1,0]
	v_pk_fma_f16 v65, 0xbbb23836, v26, v8 op_sel_hi:[1,0,1]
	v_lshrrev_b32_e32 v0, 1, v0
	v_sub_f16_e32 v62, v46, v36
	v_pk_add_f16 v3, v4, v3
	v_add_f16_e32 v64, v38, v53
	v_pk_mul_f16 v6, 0xbacd3722, v63 op_sel_hi:[1,0]
	v_pk_fma_f16 v4, 0xba623bb2, v28, v9 op_sel_hi:[1,0,1]
	v_lshl_add_u32 v66, v0, 1, v0
	v_pk_add_f16 v3, v65, v3
	v_sub_f16_e32 v65, v37, v31
	v_pk_mul_f16 v0, 0xbbdd3b76, v64 op_sel_hi:[1,0]
	v_pk_fma_f16 v67, 0xb8363b29, v62, v6 op_sel_hi:[1,0,1]
	v_sub_nc_u32_e32 v1, v1, v66
	v_pk_add_f16 v3, v4, v3
	v_cmp_gt_u32_e64 s1, 0x50, v5
	v_pk_fma_f16 v4, 0xb1e135c8, v65, v0 op_sel_hi:[1,0,1]
	s_delay_alu instid0(VALU_DEP_4) | instskip(NEXT) | instid1(VALU_DEP_4)
	v_mul_u32_u24_e32 v1, 0x550, v1
	v_pk_add_f16 v3, v67, v3
	s_delay_alu instid0(VALU_DEP_1) | instskip(NEXT) | instid1(VALU_DEP_3)
	v_pk_add_f16 v3, v4, v3
	v_lshlrev_b32_e32 v4, 1, v1
	s_and_saveexec_b32 s0, s1
	s_cbranch_execz .LBB0_14
; %bb.13:
	v_add_f16_e32 v1, v2, v45
	v_pack_b32_f16 v66, v20, v20
	v_pk_mul_f16 v20, 0xb5c8b964, v20 op_sel_hi:[1,0]
	v_pack_b32_f16 v14, v14, v14
	v_perm_b32 v2, v2, v2, 0x5040100
	v_add_f16_e32 v1, v1, v44
	v_pack_b32_f16 v67, v22, v22
	v_pk_mul_f16 v22, 0xb964bbf7, v22 op_sel_hi:[1,0]
	v_pk_add_f16 v10, v10, v20 neg_lo:[0,1] neg_hi:[0,1]
	v_pack_b32_f16 v13, v13, v13
	v_add_f16_e32 v1, v1, v43
	v_pack_b32_f16 v23, v23, v23
	v_pack_b32_f16 v68, v21, v21
	v_pk_mul_f16 v21, 0xbb29ba62, v21 op_sel_hi:[1,0]
	v_pack_b32_f16 v25, v25, v25
	v_add_f16_e32 v1, v1, v42
	v_pack_b32_f16 v27, v27, v27
	v_pk_mul_f16 v74, 0xbbddbacd, v14
	v_pk_mul_f16 v82, 0xb8d2b461, v14
	;; [unrolled: 1-line block ×3, first 2 shown]
	v_add_f16_e32 v1, v1, v41
	v_pk_add_f16 v10, v2, v10
	v_pk_add_f16 v11, v11, v22 neg_lo:[0,1] neg_hi:[0,1]
	v_pack_b32_f16 v69, v24, v24
	v_pk_mul_f16 v24, 0xbbf7b1e1, v24 op_sel_hi:[1,0]
	v_add_f16_e32 v1, v1, v40
	v_pk_mul_f16 v75, 0x3b763722, v13
	v_pk_mul_f16 v76, 0xbacd2de8, v23
	v_pk_mul_f16 v77, 0x39e9b8d2, v25
	v_pk_mul_f16 v78, 0xb8d23b76, v27
	v_add_f16_e32 v1, v1, v39
	v_pk_mul_f16 v83, 0xb461bacd, v13
	v_pk_mul_f16 v84, 0x3b7639e9, v23
	v_pk_mul_f16 v85, 0xbacd3722, v25
	v_pk_mul_f16 v86, 0x2de8bbdd, v27
	;; [unrolled: 5-line block ×3, first 2 shown]
	v_add_f16_e32 v1, v1, v53
	v_pk_add_f16 v10, v11, v10
	v_pk_add_f16 v11, v12, v21 neg_lo:[0,1] neg_hi:[0,1]
	v_pk_fma_f16 v27, 0xbbf7bb29, v66, v14 neg_lo:[0,1,0] neg_hi:[0,1,0]
	v_pack_b32_f16 v70, v26, v26
	v_add_f16_e32 v1, v1, v54
	v_pk_mul_f16 v26, 0xbbb23836, v26 op_sel_hi:[1,0]
	v_pk_add_f16 v10, v11, v10
	v_pk_add_f16 v7, v7, v24 neg_lo:[0,1] neg_hi:[0,1]
	v_pk_add_f16 v24, v2, v27
	v_add_f16_e32 v1, v1, v55
	v_pk_fma_f16 v27, 0xb1e1ba62, v67, v13 neg_lo:[0,1,0] neg_hi:[0,1,0]
	v_pack_b32_f16 v71, v28, v28
	v_pk_mul_f16 v28, 0xba623bb2, v28 op_sel_hi:[1,0]
	v_pk_add_f16 v7, v7, v10
	v_add_f16_e32 v1, v1, v56
	v_pk_add_f16 v8, v8, v26 neg_lo:[0,1] neg_hi:[0,1]
	v_pk_add_f16 v24, v27, v24
	v_pk_fma_f16 v26, 0x3bb231e1, v68, v22 neg_lo:[0,1,0] neg_hi:[0,1,0]
	v_pack_b32_f16 v72, v62, v62
	v_add_f16_e32 v1, v1, v57
	v_pk_mul_f16 v62, 0xb8363b29, v62 op_sel_hi:[1,0]
	v_pk_add_f16 v7, v8, v7
	v_pk_add_f16 v8, v9, v28 neg_lo:[0,1] neg_hi:[0,1]
	v_pk_add_f16 v9, v26, v24
	v_add_f16_e32 v1, v1, v58
	v_pk_fma_f16 v24, 0x35c83bb2, v69, v23 neg_lo:[0,1,0] neg_hi:[0,1,0]
	v_pack_b32_f16 v61, v61, v61
	v_pk_add_f16 v7, v8, v7
	v_pk_add_f16 v6, v6, v62 neg_lo:[0,1] neg_hi:[0,1]
	v_add_f16_e32 v1, v1, v59
	v_pk_fma_f16 v8, 0x3bb23836, v67, v83 neg_lo:[0,1,0] neg_hi:[0,1,0]
	v_pk_add_f16 v9, v24, v9
	v_pk_fma_f16 v24, 0xbb293964, v70, v25 neg_lo:[0,1,0] neg_hi:[0,1,0]
	v_pk_fma_f16 v26, 0xb1e1b836, v66, v74 neg_lo:[0,1,0] neg_hi:[0,1,0]
	v_add_f16_e32 v10, v1, v60
	v_mul_u32_u24_e32 v1, 34, v5
	v_pack_b32_f16 v63, v63, v63
	v_pk_mul_f16 v12, 0xbacd3b76, v61
	v_pk_add_f16 v6, v6, v7
	v_pk_fma_f16 v7, 0xb5c83964, v68, v84 neg_lo:[0,1,0] neg_hi:[0,1,0]
	v_add3_u32 v27, 0, v1, v4
	v_pk_fma_f16 v1, 0xba62bbb2, v66, v82 neg_lo:[0,1,0] neg_hi:[0,1,0]
	v_pack_b32_f16 v73, v65, v65
	v_pk_mul_f16 v65, 0xb1e135c8, v65 op_sel_hi:[1,0]
	v_pk_mul_f16 v21, 0xb8d22de8, v63
	v_pack_b32_f16 v64, v64, v64
	v_pk_add_f16 v1, v2, v1
	v_pk_mul_f16 v87, 0x39e92de8, v61
	v_pk_add_f16 v0, v0, v65 neg_lo:[0,1] neg_hi:[0,1]
	v_pk_mul_f16 v79, 0x3722bbdd, v61
	v_pk_mul_f16 v11, 0x39e9bacd, v64
	v_pk_add_f16 v1, v8, v1
	v_pk_add_f16 v8, v24, v9
	;; [unrolled: 1-line block ×3, first 2 shown]
	v_pk_fma_f16 v24, 0x35c83b29, v67, v75 neg_lo:[0,1,0] neg_hi:[0,1,0]
	v_pk_fma_f16 v26, 0xb836b5c8, v71, v12 neg_lo:[0,1,0] neg_hi:[0,1,0]
	v_pk_add_f16 v1, v7, v1
	v_pk_fma_f16 v7, 0xb836bb29, v69, v85 neg_lo:[0,1,0] neg_hi:[0,1,0]
	v_pk_add_f16 v0, v0, v6
	v_pk_add_f16 v9, v24, v9
	v_pk_fma_f16 v24, 0xb836bbf7, v68, v76 neg_lo:[0,1,0] neg_hi:[0,1,0]
	v_pk_add_f16 v8, v26, v8
	v_pk_add_f16 v1, v7, v1
	v_pk_fma_f16 v7, 0x3bf7b1e1, v70, v86 neg_lo:[0,1,0] neg_hi:[0,1,0]
	v_pk_fma_f16 v26, 0x3a62bbf7, v72, v21 neg_lo:[0,1,0] neg_hi:[0,1,0]
	v_pk_add_f16 v9, v24, v9
	v_pk_fma_f16 v24, 0x39643a62, v69, v77 neg_lo:[0,1,0] neg_hi:[0,1,0]
	v_pk_fma_f16 v6, 0xb9643bf7, v71, v87 neg_lo:[0,1,0] neg_hi:[0,1,0]
	v_pk_add_f16 v1, v7, v1
	v_pk_add_f16 v7, v26, v8
	v_pk_fma_f16 v14, 0xbbf7bb29, v66, v14
	v_pk_add_f16 v8, v24, v9
	v_pk_fma_f16 v9, 0xba62b5c8, v70, v78 neg_lo:[0,1,0] neg_hi:[0,1,0]
	v_pk_fma_f16 v24, 0x3964b836, v73, v11 neg_lo:[0,1,0] neg_hi:[0,1,0]
	v_pk_add_f16 v1, v6, v1
	v_alignbit_b32 v6, v0, v0, 16
	v_pk_fma_f16 v28, 0x35c83b29, v67, v75
	v_pk_add_f16 v0, v9, v8
	v_pk_fma_f16 v8, 0x3b29b1e1, v71, v79 neg_lo:[0,1,0] neg_hi:[0,1,0]
	v_pk_add_f16 v7, v24, v7
	v_pk_fma_f16 v24, 0xb1e1b836, v66, v74
	v_pk_fma_f16 v61, 0x3bb23836, v67, v83
	v_pk_fma_f16 v13, 0xb1e1ba62, v67, v13
	v_pk_add_f16 v0, v8, v0
	v_pk_fma_f16 v8, 0xba62bbb2, v66, v82
	v_pk_add_f16 v24, v2, v24
	v_pk_mul_f16 v88, 0xbbdd3b76, v63
	v_pk_mul_f16 v80, 0xb46139e9, v63
	v_pk_fma_f16 v12, 0xb836b5c8, v71, v12
	v_pk_add_f16 v8, v2, v8
	v_pk_add_f16 v2, v2, v14
	;; [unrolled: 1-line block ×3, first 2 shown]
	v_pk_fma_f16 v24, 0xb836bbf7, v68, v76
	v_pk_fma_f16 v28, 0xb5c83964, v68, v84
	v_pk_add_f16 v8, v61, v8
	v_pk_add_f16 v2, v13, v2
	v_pk_fma_f16 v13, 0x3bb231e1, v68, v22
	v_pk_add_f16 v14, v24, v14
	v_pk_fma_f16 v22, 0x39643a62, v69, v77
	;; [unrolled: 2-line block ×9, first 2 shown]
	v_pk_add_f16 v2, v13, v2
	v_pk_fma_f16 v26, 0xb1e1b5c8, v72, v88 neg_lo:[0,1,0] neg_hi:[0,1,0]
	v_pk_mul_f16 v81, 0x2de8b461, v64
	v_pk_mul_f16 v20, 0x3722b8d2, v64
	v_pk_add_f16 v13, v22, v14
	v_pk_fma_f16 v14, 0xbbb23964, v72, v80
	v_pk_add_f16 v8, v23, v8
	v_pk_fma_f16 v22, 0xb1e1b5c8, v72, v88
	;; [unrolled: 2-line block ×3, first 2 shown]
	v_pk_add_f16 v1, v26, v1
	v_pk_fma_f16 v26, 0xbbb23964, v72, v80 neg_lo:[0,1,0] neg_hi:[0,1,0]
	v_pk_fma_f16 v9, 0x3b29ba62, v73, v20 neg_lo:[0,1,0] neg_hi:[0,1,0]
	v_pk_add_f16 v13, v14, v13
	v_pk_fma_f16 v14, 0x3bf7bbb2, v73, v81
	v_pk_add_f16 v8, v22, v8
	v_pk_fma_f16 v20, 0x3b29ba62, v73, v20
	;; [unrolled: 2-line block ×3, first 2 shown]
	v_pk_add_f16 v0, v26, v0
	v_pk_fma_f16 v12, 0x3bf7bbb2, v73, v81 neg_lo:[0,1,0] neg_hi:[0,1,0]
	v_pk_add_f16 v13, v14, v13
	v_pk_add_f16 v14, v20, v8
	;; [unrolled: 1-line block ×5, first 2 shown]
	v_alignbit_b32 v0, v13, v13, 16
	v_alignbit_b32 v1, v14, v14, 16
	v_alignbit_b32 v2, v2, v2, 16
	ds_store_b16 v27, v10
	ds_store_b128 v27, v[6:9] offset:2
	ds_store_b128 v27, v[0:3] offset:18
.LBB0_14:
	s_wait_alu 0xfffe
	s_or_b32 exec_lo, exec_lo, s0
	v_lshlrev_b32_e32 v0, 1, v5
	global_wb scope:SCOPE_SE
	s_wait_dscnt 0x0
	s_barrier_signal -1
	s_barrier_wait -1
	global_inv scope:SCOPE_SE
	v_add_nc_u32_e32 v61, 0, v0
	v_add3_u32 v20, 0, v4, v0
	v_cmp_gt_u32_e64 s0, 17, v5
                                        ; implicit-def: $vgpr13
                                        ; implicit-def: $vgpr24
                                        ; implicit-def: $vgpr23
	s_delay_alu instid0(VALU_DEP_3)
	v_add_nc_u32_e32 v21, v61, v4
	ds_load_u16 v1, v20
	ds_load_u16 v2, v21 offset:170
	ds_load_u16 v11, v21 offset:714
	;; [unrolled: 1-line block ×14, first 2 shown]
	s_and_saveexec_b32 s4, s0
	s_cbranch_execz .LBB0_16
; %bb.15:
	ds_load_u16 v3, v21 offset:510
	ds_load_u16 v23, v21 offset:1598
	;; [unrolled: 1-line block ×3, first 2 shown]
	s_wait_dscnt 0x2
	ds_load_u16_d16_hi v3, v21 offset:1054
	ds_load_u16 v24, v21 offset:2142
.LBB0_16:
	s_wait_alu 0xfffe
	s_or_b32 exec_lo, exec_lo, s4
	v_sub_f16_e32 v70, v45, v60
	v_add_f16_e32 v68, v52, v29
	v_sub_f16_e32 v67, v44, v59
	v_add_f16_e32 v69, v51, v30
	v_sub_f16_e32 v66, v43, v58
	v_pk_mul_f16 v44, 0xb5c8b964, v70 op_sel_hi:[1,0]
	v_add_f16_e32 v65, v50, v32
	v_pk_mul_f16 v43, 0xb964bbf7, v67 op_sel_hi:[1,0]
	v_sub_f16_e32 v64, v42, v57
	v_pk_mul_f16 v45, 0xbb29ba62, v66 op_sel_hi:[1,0]
	v_pk_fma_f16 v0, 0x3b7639e9, v68, v44 op_sel_hi:[1,0,1] neg_lo:[0,0,1] neg_hi:[0,0,1]
	v_add_f16_e32 v62, v49, v33
	v_pk_fma_f16 v42, 0x39e92de8, v69, v43 op_sel_hi:[1,0,1] neg_lo:[0,0,1] neg_hi:[0,0,1]
	v_sub_f16_e32 v63, v41, v56
	v_pk_mul_f16 v56, 0xbbf7b1e1, v64 op_sel_hi:[1,0]
	v_pk_add_f16 v0, v31, v0 op_sel:[1,0]
	v_pk_fma_f16 v41, 0x3722b8d2, v65, v45 op_sel_hi:[1,0,1] neg_lo:[0,0,1] neg_hi:[0,0,1]
	v_add_f16_e32 v60, v48, v34
	v_sub_f16_e32 v57, v40, v55
	v_pk_mul_f16 v55, 0xbbb23836, v63 op_sel_hi:[1,0]
	v_pk_add_f16 v0, v42, v0
	v_pk_fma_f16 v40, 0x2de8bbdd, v62, v56 op_sel_hi:[1,0,1] neg_lo:[0,0,1] neg_hi:[0,0,1]
	v_add_f16_e32 v59, v47, v35
	v_sub_f16_e32 v42, v39, v54
	v_pk_mul_f16 v54, 0xba623bb2, v57 op_sel_hi:[1,0]
	v_pk_add_f16 v0, v41, v0
	v_pk_fma_f16 v39, 0xb461bacd, v60, v55 op_sel_hi:[1,0,1] neg_lo:[0,0,1] neg_hi:[0,0,1]
	v_add_f16_e32 v41, v46, v36
	v_pk_mul_f16 v58, 0xb8363b29, v42 op_sel_hi:[1,0]
	global_wb scope:SCOPE_SE
	s_wait_dscnt 0x0
	v_pk_add_f16 v0, v40, v0
	v_pk_fma_f16 v40, 0xb8d2b461, v59, v54 op_sel_hi:[1,0,1] neg_lo:[0,0,1] neg_hi:[0,0,1]
	s_barrier_signal -1
	s_barrier_wait -1
	global_inv scope:SCOPE_SE
	v_pk_add_f16 v0, v39, v0
	v_sub_f16_e32 v39, v38, v53
	v_add_f16_e32 v38, v37, v31
	v_pk_fma_f16 v53, 0xbacd3722, v41, v58 op_sel_hi:[1,0,1] neg_lo:[0,0,1] neg_hi:[0,0,1]
	s_delay_alu instid0(VALU_DEP_4) | instskip(NEXT) | instid1(VALU_DEP_4)
	v_pk_add_f16 v0, v40, v0
	v_pk_mul_f16 v40, 0xb1e135c8, v39 op_sel_hi:[1,0]
	s_delay_alu instid0(VALU_DEP_2) | instskip(NEXT) | instid1(VALU_DEP_2)
	v_pk_add_f16 v0, v53, v0
	v_pk_fma_f16 v53, 0xbbdd3b76, v38, v40 op_sel_hi:[1,0,1] neg_lo:[0,0,1] neg_hi:[0,0,1]
	s_delay_alu instid0(VALU_DEP_1)
	v_pk_add_f16 v0, v53, v0
	s_and_saveexec_b32 s4, s1
	s_cbranch_execz .LBB0_18
; %bb.17:
	v_lshrrev_b32_e32 v71, 16, v31
	v_mul_f16_e32 v89, 0xbb29, v70
	v_pack_b32_f16 v73, v70, v70
	v_mul_f16_e32 v70, 0xb1e1, v70
	v_pk_mul_f16 v72, 0x3b7639e9, v68 op_sel_hi:[1,0]
	v_add_f16_e32 v52, v71, v52
	v_fmamk_f16 v92, v68, 0x3722, v89
	v_pack_b32_f16 v77, v67, v67
	v_fma_f16 v89, v68, 0x3722, -v89
	v_fmamk_f16 v93, v68, 0xbbdd, v70
	v_add_f16_e32 v51, v52, v51
	v_add_f16_e32 v92, v71, v92
	v_pk_mul_f16 v76, 0x39e92de8, v69 op_sel_hi:[1,0]
	v_add_f16_e32 v89, v71, v89
	v_add_f16_e32 v93, v71, v93
	;; [unrolled: 1-line block ×3, first 2 shown]
	v_mul_f16_e32 v95, 0x31e1, v66
	v_bfi_b32 v37, 0xffff, v37, v44
	v_pk_mul_f16 v79, 0x3722b8d2, v65 op_sel_hi:[1,0]
	v_pack_b32_f16 v52, v66, v66
	v_add_f16_e32 v49, v50, v49
	v_mul_f16_e32 v66, 0xb836, v66
	v_pk_add_f16 v43, v76, v43
	v_pk_add_f16 v44, v72, v44
	v_perm_b32 v74, v31, v31, 0x7060302
	v_add_f16_e32 v48, v49, v48
	v_pack_b32_f16 v78, v65, v65
	v_pk_mul_f16 v81, 0x2de8bbdd, v62 op_sel_hi:[1,0]
	v_pack_b32_f16 v82, v64, v64
	v_mul_f16_e32 v96, 0x3964, v63
	v_add_f16_e32 v47, v48, v47
	v_bfi_b32 v36, 0xffff, v36, v43
	v_pk_mul_f16 v83, 0xb461bacd, v60 op_sel_hi:[1,0]
	v_pack_b32_f16 v84, v63, v63
	v_pk_mul_f16 v50, 0xb8d2b461, v59 op_sel_hi:[1,0]
	v_add_f16_e32 v46, v47, v46
	v_mul_f16_e32 v47, 0xba62, v67
	v_mul_f16_e32 v67, 0x35c8, v67
	;; [unrolled: 1-line block ×3, first 2 shown]
	v_pk_mul_f16 v88, 0xbacd3722, v41 op_sel_hi:[1,0]
	v_bfi_b32 v46, 0xffff, v46, v72
	v_fmamk_f16 v94, v69, 0xb8d2, v47
	v_fma_f16 v47, v69, 0xb8d2, -v47
	v_alignbit_b32 v72, s0, v31, 16
	v_pack_b32_f16 v49, v42, v42
	v_pk_add_f16 v37, v46, v37
	v_add_f16_e32 v92, v94, v92
	v_fmamk_f16 v94, v69, 0x3b76, v67
	v_add_f16_e32 v47, v47, v89
	v_fmamk_f16 v89, v65, 0xbbdd, v95
	v_fma_f16 v95, v65, 0xbbdd, -v95
	v_pk_add_f16 v31, v37, v31
	v_add_f16_e32 v93, v94, v93
	v_mul_f16_e32 v94, 0x3bb2, v64
	v_add_f16_e32 v89, v89, v92
	v_add_f16_e32 v47, v95, v47
	v_mul_f16_e32 v92, 0xbacd, v65
	v_fmamk_f16 v65, v65, 0xbacd, v66
	v_fmamk_f16 v95, v62, 0xb461, v94
	v_mul_f16_e32 v64, 0x3964, v64
	v_pk_add_f16 v37, v79, v45
	v_pk_add_f16 v44, v72, v44
	v_fma_f16 v94, v62, 0xb461, -v94
	v_add_f16_e32 v65, v65, v93
	v_add_f16_e32 v89, v95, v89
	v_fmamk_f16 v93, v62, 0x39e9, v64
	v_fmamk_f16 v95, v60, 0x39e9, v96
	v_pk_add_f16 v31, v31, v36
	v_bfi_b32 v35, 0xffff, v35, v37
	v_pk_add_f16 v36, v81, v56
	v_pk_add_f16 v43, v43, v44
	v_add_f16_e32 v47, v94, v47
	v_add_f16_e32 v65, v93, v65
	;; [unrolled: 1-line block ×3, first 2 shown]
	v_fma_f16 v93, v60, 0x39e9, -v96
	v_mul_f16_e32 v95, 0xb5c8, v57
	v_pk_add_f16 v31, v31, v35
	v_bfi_b32 v34, 0xffff, v34, v36
	v_pk_add_f16 v35, v83, v55
	v_pk_add_f16 v37, v37, v43
	v_fmamk_f16 v94, v60, 0xb8d2, v63
	v_add_f16_e32 v47, v93, v47
	v_fma_f16 v46, v59, 0x3b76, -v95
	v_mul_f16_e32 v56, 0x3b29, v57
	v_mul_f16_e32 v55, 0xbbf7, v42
	v_pk_add_f16 v31, v31, v34
	v_bfi_b32 v33, 0xffff, v33, v35
	v_pk_add_f16 v34, v50, v54
	v_pk_add_f16 v36, v36, v37
	v_add_f16_e32 v65, v94, v65
	v_fmamk_f16 v93, v59, 0x3b76, v95
	v_add_f16_e32 v46, v46, v47
	v_fmamk_f16 v44, v59, 0x3722, v56
	v_pk_add_f16 v31, v31, v33
	v_bfi_b32 v32, 0xffff, v32, v34
	v_pk_add_f16 v33, v88, v58
	v_fma_f16 v37, v41, 0x2de8, -v55
	v_mul_f16_e32 v42, 0xbbb2, v42
	v_pk_add_f16 v35, v35, v36
	v_pack_b32_f16 v53, v68, v68
	v_pack_b32_f16 v87, v41, v41
	v_pk_mul_f16 v91, 0xbbdd3b76, v38 op_sel_hi:[1,0]
	v_add_f16_e32 v45, v93, v89
	v_add_f16_e32 v43, v44, v65
	v_fmamk_f16 v44, v41, 0x2de8, v55
	v_pk_add_f16 v31, v31, v32
	v_bfi_b32 v30, 0xffff, v30, v33
	v_add_f16_e32 v36, v37, v46
	v_mul_f16_e32 v32, 0xb461, v41
	v_fmamk_f16 v37, v41, 0xb461, v42
	v_pk_add_f16 v34, v34, v35
	v_mul_f16_e32 v35, 0xbacd, v38
	v_mul_f16_e32 v41, 0xb836, v39
	v_pk_mul_f16 v46, 0xbbb2bbf7, v73
	v_pack_b32_f16 v75, v69, v69
	v_pk_add_f16 v30, v31, v30
	v_pk_add_f16 v31, v91, v40
	v_perm_b32 v44, v44, v91, 0x5040100
	v_perm_b32 v40, v45, v40, 0x5040100
	v_pack_b32_f16 v33, v33, v35
	v_pack_b32_f16 v34, v34, v41
	v_pk_fma_f16 v35, 0xb4612de8, v53, v46
	v_pk_mul_f16 v45, 0x3836b1e1, v77
	v_bfi_b32 v29, 0xffff, v29, v31
	v_pk_add_f16 v31, v44, v40
	v_pk_add_f16 v33, v33, v34
	;; [unrolled: 1-line block ×3, first 2 shown]
	v_pk_fma_f16 v35, 0xbacdbbdd, v75, v45
	v_pk_mul_f16 v40, 0x39643bb2, v52
	v_pk_add_f16 v29, v30, v29
	v_pk_add_f16 v30, v33, v31
	v_add_f16_e32 v37, v37, v43
	v_pk_add_f16 v31, v35, v34
	v_pk_fma_f16 v33, 0x39e9b461, v78, v40
	v_pk_mul_f16 v34, 0xb4612de8, v53
	v_pk_mul_f16 v43, 0xbacdbbdd, v75
	v_pack_b32_f16 v80, v62, v62
	v_pk_mul_f16 v35, 0xbb2935c8, v82
	v_pk_add_f16 v31, v33, v31
	v_sub_f16_e32 v33, v34, v46
	v_pk_mul_f16 v46, 0x39e9b461, v78
	v_sub_f16_e32 v43, v43, v45
	v_pack_b32_f16 v51, v60, v60
	v_pack_b32_f16 v86, v57, v57
	v_add_f16_e32 v33, v71, v33
	v_pk_fma_f16 v34, 0x37223b76, v80, v35
	v_pk_mul_f16 v44, 0xb1e1bb29, v84
	v_pk_mul_f16 v50, 0x37223b76, v80
	v_sub_f16_e32 v40, v46, v40
	v_add_f16_e32 v33, v43, v33
	v_pack_b32_f16 v85, v59, v59
	v_pk_add_f16 v31, v34, v31
	v_pk_fma_f16 v34, 0xbbdd3722, v51, v44
	v_pk_mul_f16 v45, 0x3bf7b836, v86
	v_pk_mul_f16 v43, 0xbbdd3722, v51
	v_add_f16_e32 v33, v40, v33
	v_sub_f16_e32 v35, v50, v35
	v_pk_add_f16 v31, v34, v31
	v_pk_fma_f16 v34, 0x2de8bacd, v85, v45
	v_pk_mul_f16 v46, 0x2de8bacd, v85
	v_pack_b32_f16 v90, v38, v38
	v_add_f16_e32 v33, v35, v33
	v_sub_f16_e32 v35, v43, v44
	v_pack_b32_f16 v48, v39, v39
	v_pk_add_f16 v31, v34, v31
	v_pk_mul_f16 v34, 0xb5c83a62, v49
	v_pk_mul_f16 v50, 0x3b76b8d2, v87
	v_add_f16_e32 v33, v35, v33
	v_sub_f16_e32 v35, v46, v45
	v_pk_mul_f16 v55, 0xb8d239e9, v90
	v_pk_fma_f16 v43, 0x3b76b8d2, v87, v34
	v_pk_mul_f16 v57, 0xba623964, v48
	v_sub_f16_e32 v34, v50, v34
	v_add_f16_e32 v33, v35, v33
	v_pk_mul_f16 v40, 0xb836ba62, v73
	v_mul_f16_e32 v68, 0xbbdd, v68
	v_pk_mul_f16 v54, 0x3b293bb2, v77
	v_mul_f16_e32 v69, 0x3b76, v69
	v_add_f16_e32 v33, v34, v33
	v_sub_f16_e32 v34, v55, v57
	v_pk_fma_f16 v44, 0xbacdb8d2, v53, v40
	v_pk_fma_f16 v45, 0x3722b461, v75, v54
	v_pk_mul_f16 v46, 0xbbf7b5c8, v52
	v_pk_fma_f16 v50, 0xb8d239e9, v90, v57
	v_add_f16_e32 v55, v34, v33
	v_pk_mul_f16 v33, 0xbacdb8d2, v53
	v_pk_add_f16 v44, v74, v44
	v_pk_mul_f16 v57, 0x3722b461, v75
	v_pk_mul_f16 v72, 0x3bb23a62, v73
	v_bfi_b32 v40, 0xffff, v70, v40
	v_bfi_b32 v33, 0xffff, v68, v33
	v_pk_add_f16 v35, v45, v44
	v_pk_fma_f16 v44, 0x2de83b76, v78, v46
	v_pk_mul_f16 v45, 0x3a62b836, v82
	v_pk_mul_f16 v58, 0x2de83b76, v78
	v_pk_fma_f16 v53, 0xb461b8d2, v53, v72
	v_pk_mul_f16 v72, 0xb836bbb2, v77
	v_pk_add_f16 v33, v33, v40 neg_lo:[0,1] neg_hi:[0,1]
	v_bfi_b32 v40, 0xffff, v69, v57
	v_bfi_b32 v54, 0xffff, v67, v54
	v_mul_f16_e32 v62, 0x39e9, v62
	v_mul_f16_e32 v47, 0x3722, v59
	v_pk_add_f16 v31, v43, v31
	v_pk_add_f16 v35, v44, v35
	v_pk_fma_f16 v43, 0xb8d2bacd, v80, v45
	v_pk_mul_f16 v44, 0xb5c83bf7, v84
	v_pk_mul_f16 v59, 0xb8d2bacd, v80
	v_pk_add_f16 v53, v74, v53
	v_pk_fma_f16 v70, 0xbacdb461, v75, v72
	v_pk_mul_f16 v52, 0xb96435c8, v52
	v_pk_add_f16 v33, v74, v33
	v_pk_add_f16 v40, v40, v54 neg_lo:[0,1] neg_hi:[0,1]
	v_bfi_b32 v54, 0xffff, v92, v58
	v_bfi_b32 v46, 0xffff, v66, v46
	v_mul_f16_e32 v60, 0xb8d2, v60
	v_pk_add_f16 v34, v43, v35
	v_pk_fma_f16 v35, 0x3b762de8, v51, v44
	v_pk_mul_f16 v43, 0xb1e1b964, v86
	v_pk_mul_f16 v65, 0x3b762de8, v51
	v_pk_add_f16 v53, v70, v53
	v_pk_fma_f16 v52, 0x39e93b76, v78, v52
	v_pk_mul_f16 v57, 0x3b293836, v82
	v_pk_add_f16 v33, v40, v33
	v_pk_add_f16 v40, v54, v46 neg_lo:[0,1] neg_hi:[0,1]
	v_bfi_b32 v46, 0xffff, v62, v59
	v_bfi_b32 v45, 0xffff, v64, v45
	v_pk_add_f16 v34, v35, v34
	v_pk_fma_f16 v35, 0xbbdd39e9, v85, v43
	v_pk_mul_f16 v73, 0xbbdd39e9, v85
	v_pk_add_f16 v52, v52, v53
	v_pk_fma_f16 v53, 0x3722bacd, v80, v57
	v_pk_mul_f16 v57, 0x31e1bbf7, v84
	v_pk_add_f16 v33, v40, v33
	v_pk_add_f16 v40, v46, v45 neg_lo:[0,1] neg_hi:[0,1]
	v_bfi_b32 v45, 0xffff, v60, v65
	v_bfi_b32 v44, 0xffff, v63, v44
	v_pk_mul_f16 v71, 0x3964b1e1, v49
	v_pk_add_f16 v34, v35, v34
	v_pk_mul_f16 v35, 0x39e9bbdd, v87
	v_pk_add_f16 v52, v53, v52
	v_pk_fma_f16 v51, 0xbbdd2de8, v51, v57
	v_pk_mul_f16 v53, 0xbbf73964, v86
	v_pk_add_f16 v33, v40, v33
	v_pk_add_f16 v40, v45, v44 neg_lo:[0,1] neg_hi:[0,1]
	v_bfi_b32 v44, 0xffff, v47, v73
	v_bfi_b32 v43, 0xffff, v56, v43
	v_pk_mul_f16 v68, 0xb4613722, v90
	v_pk_add_f16 v46, v51, v52
	v_pk_fma_f16 v51, 0x2de839e9, v85, v53
	v_pk_mul_f16 v49, 0x35c831e1, v49
	v_pk_mul_f16 v45, 0xbbb23b29, v48
	v_pk_add_f16 v33, v40, v33
	v_pk_add_f16 v40, v44, v43 neg_lo:[0,1] neg_hi:[0,1]
	v_bfi_b32 v32, 0xffff, v32, v35
	v_bfi_b32 v35, 0xffff, v42, v71
	v_mul_f16_e32 v42, 0x2de8, v38
	v_mul_f16_e32 v39, 0x3bf7, v39
	v_pk_add_f16 v46, v51, v46
	v_pk_fma_f16 v47, 0x3b76bbdd, v87, v49
	v_pk_mul_f16 v43, 0x3a62bb29, v48
	v_pk_add_f16 v33, v40, v33
	v_pk_add_f16 v32, v32, v35 neg_lo:[0,1] neg_hi:[0,1]
	v_bfi_b32 v35, 0xffff, v42, v68
	v_bfi_b32 v40, 0xffff, v39, v45
	v_pk_fma_f16 v76, 0x39e9bbdd, v87, v71
	v_pk_add_f16 v42, v47, v46
	v_pk_fma_f16 v43, 0xb8d23722, v90, v43
	v_pk_add_f16 v32, v32, v33
	v_pk_add_f16 v33, v35, v40 neg_lo:[0,1] neg_hi:[0,1]
	v_fmamk_f16 v35, v38, 0x2de8, v39
	v_fma_f16 v41, v38, 0xbacd, -v41
	v_pk_add_f16 v34, v76, v34
	v_pk_fma_f16 v38, 0xb4613722, v90, v45
	v_lshlrev_b32_e32 v40, 5, v5
	v_pk_add_f16 v39, v43, v42
	v_pk_add_f16 v33, v33, v32
	v_add_f16_e32 v35, v35, v37
	v_pk_add_f16 v31, v50, v31
	v_pk_add_f16 v32, v38, v34
	v_add3_u32 v37, v61, v40, v4
	v_alignbit_b32 v34, v39, v33, 16
	v_pack_b32_f16 v33, v35, v33
	v_alignbit_b32 v35, v55, v39, 16
	v_add_f16_e32 v36, v41, v36
	ds_store_b128 v37, v[29:32]
	ds_store_b96 v37, v[33:35] offset:16
	ds_store_b16 v37, v36 offset:28
	ds_store_b32 v37, v0 offset:30
.LBB0_18:
	s_wait_alu 0xfffe
	s_or_b32 exec_lo, exec_lo, s4
	global_wb scope:SCOPE_SE
	s_wait_dscnt 0x0
	s_barrier_signal -1
	s_barrier_wait -1
	global_inv scope:SCOPE_SE
	ds_load_u16 v29, v20
	ds_load_u16 v30, v21 offset:170
	ds_load_u16 v36, v21 offset:714
	;; [unrolled: 1-line block ×14, first 2 shown]
                                        ; implicit-def: $vgpr37
                                        ; implicit-def: $vgpr50
                                        ; implicit-def: $vgpr40
	s_and_saveexec_b32 s1, s0
	s_cbranch_execz .LBB0_20
; %bb.19:
	ds_load_u16 v0, v21 offset:510
	ds_load_u16 v40, v21 offset:1598
	;; [unrolled: 1-line block ×3, first 2 shown]
	s_wait_dscnt 0x2
	ds_load_u16_d16_hi v0, v21 offset:1054
	ds_load_u16 v50, v21 offset:2142
.LBB0_20:
	s_wait_alu 0xfffe
	s_or_b32 exec_lo, exec_lo, s1
	v_and_b32_e32 v41, 0xff, v5
	v_add_nc_u16 v42, v5, 0x55
	v_add_nc_u16 v43, v5, 0xaa
	v_add_nc_u32_e32 v55, 0xff, v5
	v_lshrrev_b32_e32 v76, 16, v3
	v_mul_lo_u16 v41, 0xf1, v41
	v_and_b32_e32 v44, 0xff, v42
	v_and_b32_e32 v52, 0xff, v43
	v_and_b32_e32 v53, 0xffff, v55
	s_wait_dscnt 0x1
	v_lshrrev_b32_e32 v77, 16, v0
	v_lshrrev_b16 v41, 12, v41
	v_mul_lo_u16 v44, 0xf1, v44
	v_mul_lo_u16 v52, 0xf1, v52
	s_delay_alu instid0(VALU_DEP_3) | instskip(NEXT) | instid1(VALU_DEP_3)
	v_mul_lo_u16 v51, v41, 17
	v_lshrrev_b16 v44, 12, v44
	s_delay_alu instid0(VALU_DEP_3) | instskip(SKIP_1) | instid1(VALU_DEP_4)
	v_lshrrev_b16 v57, 12, v52
	v_and_b32_e32 v41, 0xffff, v41
	v_sub_nc_u16 v51, v5, v51
	s_delay_alu instid0(VALU_DEP_4) | instskip(NEXT) | instid1(VALU_DEP_4)
	v_mul_lo_u16 v52, v44, 17
	v_mul_lo_u16 v59, v57, 17
	s_delay_alu instid0(VALU_DEP_4) | instskip(NEXT) | instid1(VALU_DEP_4)
	v_mad_u32_u24 v41, 0xaa, v41, 0
	v_and_b32_e32 v56, 0xff, v51
	v_mul_u32_u24_e32 v51, 0xf0f1, v53
	v_sub_nc_u16 v42, v42, v52
	v_sub_nc_u16 v43, v43, v59
	s_delay_alu instid0(VALU_DEP_4) | instskip(NEXT) | instid1(VALU_DEP_4)
	v_lshlrev_b32_e32 v53, 4, v56
	v_lshrrev_b32_e32 v58, 20, v51
	s_delay_alu instid0(VALU_DEP_4) | instskip(NEXT) | instid1(VALU_DEP_4)
	v_and_b32_e32 v59, 0xff, v42
	v_and_b32_e32 v43, 0xff, v43
	global_load_b128 v[51:54], v53, s[8:9]
	v_mul_lo_u16 v58, v58, 17
	s_delay_alu instid0(VALU_DEP_1) | instskip(SKIP_1) | instid1(VALU_DEP_2)
	v_sub_nc_u16 v42, v55, v58
	v_lshlrev_b32_e32 v55, 4, v59
	v_and_b32_e32 v58, 0xffff, v42
	global_load_b128 v[64:67], v55, s[8:9]
	v_lshlrev_b32_e32 v42, 4, v43
	v_lshlrev_b32_e32 v43, 1, v43
	;; [unrolled: 1-line block ×3, first 2 shown]
	s_clause 0x1
	global_load_b128 v[68:71], v42, s[8:9]
	global_load_b128 v[72:75], v55, s[8:9]
	v_and_b32_e32 v42, 0xffff, v44
	v_and_b32_e32 v44, 0xffff, v57
	v_lshlrev_b32_e32 v55, 1, v56
	global_wb scope:SCOPE_SE
	s_wait_loadcnt_dscnt 0x0
	s_barrier_signal -1
	v_mad_u32_u24 v56, 0xaa, v42, 0
	v_mad_u32_u24 v57, 0xaa, v44, 0
	v_lshlrev_b32_e32 v44, 1, v59
	v_add3_u32 v42, v41, v55, v4
	v_lshlrev_b32_e32 v41, 1, v58
	s_barrier_wait -1
	v_add3_u32 v43, v57, v43, v4
	v_add3_u32 v44, v56, v44, v4
	global_inv scope:SCOPE_SE
	v_lshrrev_b32_e32 v55, 16, v51
	v_lshrrev_b32_e32 v56, 16, v52
	;; [unrolled: 1-line block ×4, first 2 shown]
	s_delay_alu instid0(VALU_DEP_4)
	v_mul_f16_e32 v61, v46, v55
	v_mul_f16_e32 v57, v26, v55
	;; [unrolled: 1-line block ×8, first 2 shown]
	v_lshrrev_b32_e32 v78, 16, v64
	v_lshrrev_b32_e32 v79, 16, v65
	;; [unrolled: 1-line block ×4, first 2 shown]
	v_fma_f16 v60, v26, v51, -v61
	v_fmac_f16_e32 v57, v46, v51
	v_lshrrev_b32_e32 v82, 16, v68
	v_lshrrev_b32_e32 v83, 16, v69
	;; [unrolled: 1-line block ×8, first 2 shown]
	v_fma_f16 v61, v25, v52, -v62
	v_fmac_f16_e32 v58, v45, v52
	v_fma_f16 v62, v28, v53, -v63
	v_fmac_f16_e32 v55, v48, v53
	v_fma_f16 v63, v27, v54, -v59
	v_fmac_f16_e32 v56, v47, v54
	v_mul_f16_e32 v59, v36, v78
	v_mul_f16_e32 v51, v11, v78
	;; [unrolled: 1-line block ×24, first 2 shown]
	v_fma_f16 v59, v11, v64, -v59
	v_fmac_f16_e32 v51, v36, v64
	v_fma_f16 v36, v10, v65, -v78
	v_fmac_f16_e32 v52, v35, v65
	;; [unrolled: 2-line block ×4, first 2 shown]
	v_fma_f16 v14, v8, v68, -v81
	v_fma_f16 v11, v22, v69, -v82
	;; [unrolled: 1-line block ×3, first 2 shown]
	v_fmac_f16_e32 v28, v38, v70
	v_fma_f16 v22, v9, v71, -v84
	v_fmac_f16_e32 v25, v34, v71
	v_fma_f16 v7, v23, v73, -v86
	v_fmac_f16_e32 v47, v40, v73
	v_fmac_f16_e32 v48, v37, v75
	v_add_f16_e32 v23, v61, v62
	v_sub_f16_e32 v34, v60, v61
	v_sub_f16_e32 v37, v63, v62
	v_add_f16_e32 v38, v60, v63
	v_sub_f16_e32 v39, v61, v60
	v_sub_f16_e32 v40, v62, v63
	v_fmac_f16_e32 v26, v33, v68
	v_fmac_f16_e32 v27, v49, v69
	v_fma_f16 v8, v24, v74, -v87
	v_fmac_f16_e32 v46, v50, v74
	v_fma_f16 v10, v13, v75, -v88
	v_add_f16_e32 v13, v1, v60
	v_sub_f16_e32 v24, v57, v56
	v_sub_f16_e32 v33, v58, v55
	v_fma_f16 v23, -0.5, v23, v1
	v_add_f16_e32 v34, v34, v37
	v_fmac_f16_e32 v1, -0.5, v38
	v_add_f16_e32 v37, v39, v40
	v_add_f16_e32 v38, v2, v59
	;; [unrolled: 1-line block ×3, first 2 shown]
	v_sub_f16_e32 v50, v59, v36
	v_sub_f16_e32 v64, v32, v35
	v_add_f16_e32 v65, v59, v32
	v_sub_f16_e32 v66, v36, v59
	v_sub_f16_e32 v67, v35, v32
	v_add_f16_e32 v69, v11, v12
	v_add_f16_e32 v74, v14, v22
	v_fma_f16 v9, v76, v72, -v85
	v_fmac_f16_e32 v45, v77, v72
	v_add_f16_e32 v13, v13, v61
	v_sub_f16_e32 v40, v51, v54
	v_sub_f16_e32 v49, v52, v53
	v_add_f16_e32 v68, v6, v14
	v_sub_f16_e32 v70, v26, v25
	v_sub_f16_e32 v71, v27, v28
	;; [unrolled: 1-line block ×4, first 2 shown]
	v_fmamk_f16 v77, v24, 0x3b9c, v23
	v_fmac_f16_e32 v23, 0xbb9c, v24
	v_fmamk_f16 v78, v33, 0xbb9c, v1
	v_fmac_f16_e32 v1, 0x3b9c, v33
	v_add_f16_e32 v38, v38, v36
	v_fma_f16 v39, -0.5, v39, v2
	v_add_f16_e32 v50, v50, v64
	v_fmac_f16_e32 v2, -0.5, v65
	v_add_f16_e32 v64, v66, v67
	v_fma_f16 v66, -0.5, v69, v6
	v_fmac_f16_e32 v6, -0.5, v74
	v_sub_f16_e32 v75, v11, v14
	v_sub_f16_e32 v76, v12, v22
	v_add_f16_e32 v13, v13, v62
	v_add_f16_e32 v65, v68, v11
	;; [unrolled: 1-line block ×3, first 2 shown]
	v_fmac_f16_e32 v77, 0x38b4, v33
	v_fmac_f16_e32 v23, 0xb8b4, v33
	v_fmac_f16_e32 v78, 0x38b4, v24
	v_fmac_f16_e32 v1, 0xb8b4, v24
	v_add_f16_e32 v24, v38, v35
	v_fmamk_f16 v33, v40, 0x3b9c, v39
	v_fmac_f16_e32 v39, 0xbb9c, v40
	v_fmamk_f16 v38, v49, 0xbb9c, v2
	v_fmac_f16_e32 v2, 0x3b9c, v49
	;; [unrolled: 2-line block ×4, first 2 shown]
	v_add_f16_e32 v68, v75, v76
	v_add_f16_e32 v13, v13, v63
	;; [unrolled: 1-line block ×3, first 2 shown]
	v_fmac_f16_e32 v33, 0x38b4, v49
	v_fmac_f16_e32 v39, 0xb8b4, v49
	;; [unrolled: 1-line block ×12, first 2 shown]
	v_add_f16_e32 v24, v24, v32
	v_add_f16_e32 v34, v65, v22
	v_fmac_f16_e32 v33, 0x34f2, v50
	v_fmac_f16_e32 v39, 0x34f2, v50
	;; [unrolled: 1-line block ×8, first 2 shown]
	ds_store_b16 v42, v13
	ds_store_b16 v42, v77 offset:34
	ds_store_b16 v42, v78 offset:68
	ds_store_b16 v42, v1 offset:102
	ds_store_b16 v42, v23 offset:136
	ds_store_b16 v44, v24
	ds_store_b16 v44, v33 offset:34
	ds_store_b16 v44, v38 offset:68
	ds_store_b16 v44, v2 offset:102
	ds_store_b16 v44, v39 offset:136
	;; [unrolled: 5-line block ×3, first 2 shown]
	s_and_saveexec_b32 s1, s0
	s_cbranch_execz .LBB0_22
; %bb.21:
	v_add_f16_e32 v1, v9, v10
	v_add_f16_e32 v23, v7, v8
	;; [unrolled: 1-line block ×3, first 2 shown]
	v_sub_f16_e32 v24, v45, v48
	v_sub_f16_e32 v2, v7, v9
	v_fma_f16 v1, -0.5, v1, v3
	v_fma_f16 v3, -0.5, v23, v3
	v_sub_f16_e32 v6, v8, v10
	v_sub_f16_e32 v13, v47, v46
	v_add_f16_e32 v33, v33, v7
	v_sub_f16_e32 v23, v9, v7
	v_sub_f16_e32 v34, v10, v8
	v_fmamk_f16 v37, v24, 0xbb9c, v3
	v_fmac_f16_e32 v3, 0x3b9c, v24
	v_add_f16_e32 v2, v2, v6
	v_fmamk_f16 v6, v13, 0x3b9c, v1
	v_fmac_f16_e32 v1, 0xbb9c, v13
	v_add_f16_e32 v33, v33, v8
	v_add_f16_e32 v23, v23, v34
	v_fmac_f16_e32 v3, 0x38b4, v13
	v_fmac_f16_e32 v6, 0xb8b4, v24
	;; [unrolled: 1-line block ×4, first 2 shown]
	v_add_f16_e32 v13, v33, v10
	v_add3_u32 v24, 0, v41, v4
	v_fmac_f16_e32 v3, 0x34f2, v23
	v_fmac_f16_e32 v1, 0x34f2, v2
	;; [unrolled: 1-line block ×4, first 2 shown]
	ds_store_b16 v24, v13 offset:2550
	ds_store_b16 v24, v3 offset:2584
	;; [unrolled: 1-line block ×5, first 2 shown]
.LBB0_22:
	s_wait_alu 0xfffe
	s_or_b32 exec_lo, exec_lo, s1
	v_add_f16_e32 v1, v58, v55
	v_add_f16_e32 v2, v29, v57
	v_sub_f16_e32 v3, v60, v63
	v_add_f16_e32 v24, v57, v56
	v_sub_f16_e32 v6, v61, v62
	v_fma_f16 v1, -0.5, v1, v29
	v_sub_f16_e32 v13, v57, v58
	v_sub_f16_e32 v23, v56, v55
	v_add_f16_e32 v2, v2, v58
	v_fmac_f16_e32 v29, -0.5, v24
	v_fmamk_f16 v49, v3, 0xbb9c, v1
	v_fmac_f16_e32 v1, 0x3b9c, v3
	v_add_f16_e32 v24, v52, v53
	v_sub_f16_e32 v33, v58, v57
	v_add_f16_e32 v13, v13, v23
	v_add_f16_e32 v2, v2, v55
	v_fmac_f16_e32 v49, 0xb8b4, v6
	v_sub_f16_e32 v23, v55, v56
	v_fmamk_f16 v50, v6, 0x3b9c, v29
	v_fmac_f16_e32 v1, 0x38b4, v6
	v_fmac_f16_e32 v29, 0xbb9c, v6
	v_add_f16_e32 v6, v30, v51
	v_fma_f16 v55, -0.5, v24, v30
	v_sub_f16_e32 v24, v59, v32
	v_fmac_f16_e32 v49, 0x34f2, v13
	v_fmac_f16_e32 v50, 0xb8b4, v3
	v_add_f16_e32 v23, v33, v23
	v_fmac_f16_e32 v1, 0x34f2, v13
	v_fmac_f16_e32 v29, 0x38b4, v3
	v_add_f16_e32 v3, v6, v52
	v_fmamk_f16 v6, v24, 0xbb9c, v55
	v_sub_f16_e32 v13, v36, v35
	v_sub_f16_e32 v32, v51, v52
	;; [unrolled: 1-line block ×3, first 2 shown]
	v_fmac_f16_e32 v55, 0x3b9c, v24
	v_add_f16_e32 v34, v51, v54
	v_fmac_f16_e32 v6, 0xb8b4, v13
	v_add_f16_e32 v2, v2, v56
	v_add_f16_e32 v32, v32, v33
	v_fmac_f16_e32 v55, 0x38b4, v13
	v_fmac_f16_e32 v30, -0.5, v34
	v_fmac_f16_e32 v50, 0x34f2, v23
	v_fmac_f16_e32 v29, 0x34f2, v23
	;; [unrolled: 1-line block ×4, first 2 shown]
	v_fmamk_f16 v56, v13, 0x3b9c, v30
	v_add_f16_e32 v23, v27, v28
	v_sub_f16_e32 v32, v52, v51
	v_sub_f16_e32 v33, v53, v54
	v_fmac_f16_e32 v30, 0xbb9c, v13
	v_add_f16_e32 v13, v31, v26
	v_fma_f16 v51, -0.5, v23, v31
	v_sub_f16_e32 v14, v14, v22
	v_fmac_f16_e32 v56, 0xb8b4, v24
	v_add_f16_e32 v22, v32, v33
	v_fmac_f16_e32 v30, 0x38b4, v24
	v_add_f16_e32 v13, v13, v27
	v_add_f16_e32 v23, v26, v25
	v_fmamk_f16 v52, v14, 0xbb9c, v51
	v_sub_f16_e32 v11, v11, v12
	v_fmac_f16_e32 v56, 0x34f2, v22
	v_fmac_f16_e32 v30, 0x34f2, v22
	v_add_f16_e32 v12, v13, v28
	v_fmac_f16_e32 v31, -0.5, v23
	v_sub_f16_e32 v13, v26, v27
	v_sub_f16_e32 v22, v25, v28
	v_fmac_f16_e32 v51, 0x3b9c, v14
	v_sub_f16_e32 v23, v27, v26
	v_sub_f16_e32 v24, v28, v25
	v_add_f16_e32 v3, v3, v53
	v_fmac_f16_e32 v52, 0xb8b4, v11
	v_fmamk_f16 v53, v11, 0x3b9c, v31
	v_fmac_f16_e32 v31, 0xbb9c, v11
	v_add_f16_e32 v13, v13, v22
	v_fmac_f16_e32 v51, 0x38b4, v11
	v_add_f16_e32 v11, v23, v24
	v_add_f16_e32 v12, v12, v25
	global_wb scope:SCOPE_SE
	s_wait_dscnt 0x0
	s_barrier_signal -1
	s_barrier_wait -1
	global_inv scope:SCOPE_SE
	ds_load_u16 v22, v20
	ds_load_u16 v32, v21 offset:170
	ds_load_u16 v37, v21 offset:340
	;; [unrolled: 1-line block ×15, first 2 shown]
	v_fmac_f16_e32 v53, 0xb8b4, v14
	v_fmac_f16_e32 v31, 0x38b4, v14
	v_add_f16_e32 v3, v3, v54
	v_fmac_f16_e32 v52, 0x34f2, v13
	v_fmac_f16_e32 v51, 0x34f2, v13
	;; [unrolled: 1-line block ×4, first 2 shown]
	global_wb scope:SCOPE_SE
	s_wait_dscnt 0x0
	s_barrier_signal -1
	s_barrier_wait -1
	global_inv scope:SCOPE_SE
	ds_store_b16 v42, v2
	ds_store_b16 v42, v49 offset:34
	ds_store_b16 v42, v50 offset:68
	ds_store_b16 v42, v29 offset:102
	ds_store_b16 v42, v1 offset:136
	ds_store_b16 v44, v3
	ds_store_b16 v44, v6 offset:34
	ds_store_b16 v44, v56 offset:68
	ds_store_b16 v44, v30 offset:102
	ds_store_b16 v44, v55 offset:136
	;; [unrolled: 5-line block ×3, first 2 shown]
	s_and_saveexec_b32 s1, s0
	s_cbranch_execz .LBB0_24
; %bb.23:
	v_add_f16_e32 v2, v47, v46
	v_add_f16_e32 v6, v45, v48
	;; [unrolled: 1-line block ×3, first 2 shown]
	v_sub_f16_e32 v3, v9, v10
	v_sub_f16_e32 v7, v7, v8
	v_fma_f16 v2, -0.5, v2, v0
	v_fmac_f16_e32 v0, -0.5, v6
	v_add_f16_e32 v1, v1, v47
	v_sub_f16_e32 v8, v45, v47
	v_sub_f16_e32 v9, v48, v46
	v_fmamk_f16 v6, v3, 0xbb9c, v2
	v_sub_f16_e32 v10, v47, v45
	v_fmamk_f16 v11, v7, 0x3b9c, v0
	v_sub_f16_e32 v12, v46, v48
	v_fmac_f16_e32 v0, 0xbb9c, v7
	v_fmac_f16_e32 v2, 0x3b9c, v3
	v_add_f16_e32 v1, v1, v46
	v_fmac_f16_e32 v6, 0xb8b4, v7
	v_add_f16_e32 v8, v8, v9
	;; [unrolled: 2-line block ×3, first 2 shown]
	v_fmac_f16_e32 v0, 0x38b4, v3
	v_fmac_f16_e32 v2, 0x38b4, v7
	v_add_f16_e32 v1, v1, v48
	v_add3_u32 v3, 0, v41, v4
	v_fmac_f16_e32 v6, 0x34f2, v8
	v_fmac_f16_e32 v11, 0x34f2, v9
	;; [unrolled: 1-line block ×4, first 2 shown]
	ds_store_b16 v3, v1 offset:2550
	ds_store_b16 v3, v6 offset:2584
	;; [unrolled: 1-line block ×5, first 2 shown]
.LBB0_24:
	s_wait_alu 0xfffe
	s_or_b32 exec_lo, exec_lo, s1
	global_wb scope:SCOPE_SE
	s_wait_dscnt 0x0
	s_barrier_signal -1
	s_barrier_wait -1
	global_inv scope:SCOPE_SE
	s_and_saveexec_b32 s0, vcc_lo
	s_cbranch_execz .LBB0_26
; %bb.25:
	v_add_nc_u32_e32 v65, 0xff, v19
	v_mul_lo_u32 v31, s3, v17
	v_mul_lo_u32 v59, s2, v18
	v_mad_co_u64_u32 v[29:30], null, s2, v17, 0
	s_delay_alu instid0(VALU_DEP_4)
	v_mad_co_u64_u32 v[45:46], null, s16, v65, 0
	v_mul_u32_u24_e32 v0, 15, v5
	v_add_nc_u32_e32 v64, 0xaa, v19
	v_add_nc_u32_e32 v68, 0x1fe, v19
	;; [unrolled: 1-line block ×3, first 2 shown]
	v_add3_u32 v30, v30, v59, v31
	v_dual_mov_b32 v31, v46 :: v_dual_add_nc_u32 v72, 0x352, v19
	v_mad_co_u64_u32 v[43:44], null, s16, v64, 0
	v_lshlrev_b32_e32 v12, 2, v0
	v_mad_co_u64_u32 v[51:52], null, s16, v68, 0
	s_clause 0x3
	global_load_b128 v[0:3], v12, s[8:9] offset:288
	global_load_b128 v[4:7], v12, s[8:9] offset:272
	;; [unrolled: 1-line block ×3, first 2 shown]
	global_load_b96 v[12:14], v12, s[8:9] offset:320
	ds_load_u16 v17, v21 offset:1360
	ds_load_u16 v73, v21 offset:2550
	;; [unrolled: 1-line block ×15, first 2 shown]
	ds_load_u16 v87, v20
	v_mad_co_u64_u32 v[20:21], null, s16, v19, 0
	v_add_nc_u32_e32 v63, 0x55, v19
	v_dual_mov_b32 v46, v52 :: v_dual_add_nc_u32 v71, 0x2fd, v19
	v_mad_co_u64_u32 v[55:56], null, s16, v70, 0
	v_mad_co_u64_u32 v[59:60], null, s16, v72, 0
	v_mov_b32_e32 v18, v21
	v_mad_co_u64_u32 v[41:42], null, s16, v63, 0
	v_mov_b32_e32 v21, v44
	v_mad_co_u64_u32 v[57:58], null, s16, v71, 0
	s_delay_alu instid0(VALU_DEP_4)
	v_mad_co_u64_u32 v[61:62], null, s17, v19, v[18:19]
	v_add_nc_u32_e32 v66, 0x154, v19
	v_mov_b32_e32 v18, v42
	v_lshlrev_b64_e32 v[29:30], 2, v[29:30]
	v_lshlrev_b64_e32 v[15:16], 2, v[15:16]
	v_mov_b32_e32 v52, v58
	s_delay_alu instid0(VALU_DEP_4)
	v_mad_co_u64_u32 v[62:63], null, s17, v63, v[18:19]
	v_mad_co_u64_u32 v[63:64], null, s17, v64, v[21:22]
	v_mov_b32_e32 v21, v61
	v_mad_co_u64_u32 v[47:48], null, s16, v66, 0
	v_add_nc_u32_e32 v67, 0x1a9, v19
	v_mad_co_u64_u32 v[64:65], null, s17, v65, v[31:32]
	v_add_co_u32 v18, vcc_lo, s6, v29
	s_wait_alu 0xfffd
	v_add_co_ci_u32_e32 v29, vcc_lo, s7, v30, vcc_lo
	v_mov_b32_e32 v42, v48
	v_mad_co_u64_u32 v[49:50], null, s16, v67, 0
	v_add_nc_u32_e32 v69, 0x253, v19
	v_add_co_u32 v18, vcc_lo, v18, v15
	s_delay_alu instid0(VALU_DEP_4)
	v_mad_co_u64_u32 v[65:66], null, s17, v66, v[42:43]
	v_mov_b32_e32 v42, v62
	v_mov_b32_e32 v44, v50
	v_mad_co_u64_u32 v[53:54], null, s16, v69, 0
	v_mov_b32_e32 v50, v56
	s_wait_alu 0xfffd
	v_add_co_ci_u32_e32 v31, vcc_lo, v29, v16, vcc_lo
	v_mad_co_u64_u32 v[66:67], null, s17, v67, v[44:45]
	v_mad_co_u64_u32 v[67:68], null, s17, v68, v[46:47]
	v_mov_b32_e32 v48, v54
	v_mov_b32_e32 v54, v60
	;; [unrolled: 1-line block ×4, first 2 shown]
	v_lshlrev_b64_e32 v[15:16], 2, v[20:21]
	v_mad_co_u64_u32 v[68:69], null, s17, v69, v[48:49]
	v_mad_co_u64_u32 v[69:70], null, s17, v70, v[50:51]
	v_mad_co_u64_u32 v[70:71], null, s17, v71, v[52:53]
	v_mad_co_u64_u32 v[71:72], null, s17, v72, v[54:55]
	v_mov_b32_e32 v48, v65
	v_mov_b32_e32 v50, v66
	;; [unrolled: 1-line block ×6, first 2 shown]
	v_lshlrev_b64_e32 v[20:21], 2, v[41:42]
	v_lshlrev_b64_e32 v[29:30], 2, v[43:44]
	v_lshlrev_b64_e32 v[41:42], 2, v[45:46]
	v_lshlrev_b64_e32 v[43:44], 2, v[47:48]
	v_lshlrev_b64_e32 v[45:46], 2, v[49:50]
	v_lshlrev_b64_e32 v[47:48], 2, v[51:52]
	v_lshlrev_b64_e32 v[49:50], 2, v[53:54]
	v_lshlrev_b64_e32 v[51:52], 2, v[55:56]
	v_lshlrev_b64_e32 v[53:54], 2, v[57:58]
	v_add_co_u32 v15, vcc_lo, v18, v15
	s_wait_alu 0xfffd
	v_add_co_ci_u32_e32 v16, vcc_lo, v31, v16, vcc_lo
	v_add_co_u32 v20, vcc_lo, v18, v20
	s_wait_alu 0xfffd
	v_add_co_ci_u32_e32 v21, vcc_lo, v31, v21, vcc_lo
	;; [unrolled: 3-line block ×9, first 2 shown]
	s_wait_loadcnt 0x3
	v_lshrrev_b32_e32 v55, 16, v0
	v_lshrrev_b32_e32 v56, 16, v1
	v_lshrrev_b32_e32 v57, 16, v2
	v_lshrrev_b32_e32 v58, 16, v3
	s_wait_loadcnt 0x2
	v_lshrrev_b32_e32 v60, 16, v4
	v_lshrrev_b32_e32 v61, 16, v5
	v_lshrrev_b32_e32 v62, 16, v6
	v_lshrrev_b32_e32 v63, 16, v7
	;; [unrolled: 5-line block ×3, first 2 shown]
	s_wait_loadcnt 0x0
	v_lshrrev_b32_e32 v68, 16, v12
	v_lshrrev_b32_e32 v69, 16, v13
	;; [unrolled: 1-line block ×3, first 2 shown]
	s_wait_dscnt 0xf
	v_mul_f16_e32 v72, v17, v58
	v_mul_f16_e32 v88, v23, v63
	v_mul_f16_e32 v89, v25, v67
	s_wait_dscnt 0x2
	v_mul_f16_e32 v90, v85, v61
	v_mul_f16_e32 v91, v78, v65
	;; [unrolled: 1-line block ×8, first 2 shown]
	s_wait_dscnt 0x1
	v_mul_f16_e32 v94, v86, v60
	v_mul_f16_e32 v95, v79, v64
	v_mul_f16_e32 v96, v24, v55
	v_mul_f16_e32 v97, v27, v68
	v_mul_f16_e32 v98, v84, v62
	v_mul_f16_e32 v99, v77, v66
	v_mul_f16_e32 v100, v26, v57
	v_mul_f16_e32 v101, v33, v70
	v_mul_f16_e32 v62, v28, v62
	v_mul_f16_e32 v66, v34, v66
	v_mul_f16_e32 v57, v80, v57
	v_mul_f16_e32 v70, v73, v70
	v_mul_f16_e32 v60, v32, v60
	v_mul_f16_e32 v64, v36, v64
	v_mul_f16_e32 v55, v82, v55
	v_mul_f16_e32 v68, v75, v68
	v_mul_f16_e32 v58, v40, v58
	v_mul_f16_e32 v63, v83, v63
	v_mul_f16_e32 v67, v76, v67
	v_fma_f16 v40, v40, v3, -v72
	v_fmac_f16_e32 v88, v83, v7
	v_fmac_f16_e32 v89, v76, v11
	v_fma_f16 v37, v37, v5, -v90
	v_fma_f16 v39, v39, v9, -v91
	v_fmac_f16_e32 v92, v81, v1
	v_fmac_f16_e32 v93, v74, v13
	;; [unrolled: 1-line block ×4, first 2 shown]
	v_fma_f16 v1, v35, v1, -v56
	v_fma_f16 v5, v38, v13, -v69
	;; [unrolled: 1-line block ×4, first 2 shown]
	v_fmac_f16_e32 v96, v82, v0
	v_fmac_f16_e32 v97, v75, v12
	v_fma_f16 v28, v28, v6, -v98
	v_fma_f16 v32, v34, v10, -v99
	v_fmac_f16_e32 v100, v80, v2
	v_fmac_f16_e32 v101, v73, v14
	;; [unrolled: 1-line block ×4, first 2 shown]
	v_fma_f16 v2, v26, v2, -v57
	v_fma_f16 v6, v33, v14, -v70
	v_fmac_f16_e32 v60, v4, v86
	v_fmac_f16_e32 v64, v8, v79
	v_fma_f16 v0, v24, v0, -v55
	v_fma_f16 v4, v27, v12, -v68
	v_fmac_f16_e32 v58, v3, v17
	v_fma_f16 v3, v23, v7, -v63
	v_fma_f16 v7, v25, v11, -v67
	v_sub_f16_e32 v8, v22, v40
	v_sub_f16_e32 v10, v88, v89
	;; [unrolled: 1-line block ×14, first 2 shown]
	s_wait_dscnt 0x0
	v_sub_f16_e32 v27, v87, v58
	v_sub_f16_e32 v7, v3, v7
	;; [unrolled: 1-line block ×4, first 2 shown]
	v_add_f16_e32 v34, v14, v5
	v_sub_f16_e32 v35, v13, v17
	v_sub_f16_e32 v36, v23, v24
	v_add_f16_e32 v38, v25, v6
	v_add_f16_e32 v39, v26, v4
	;; [unrolled: 1-line block ×3, first 2 shown]
	v_fma_f16 v22, v22, 2.0, -v8
	v_fma_f16 v3, v3, 2.0, -v7
	;; [unrolled: 1-line block ×16, first 2 shown]
	v_fmamk_f16 v5, v33, 0x39a8, v32
	v_fmamk_f16 v56, v36, 0x39a8, v35
	;; [unrolled: 1-line block ×4, first 2 shown]
	v_fma_f16 v8, v8, 2.0, -v32
	v_fma_f16 v11, v11, 2.0, -v33
	;; [unrolled: 1-line block ×8, first 2 shown]
	v_sub_f16_e32 v3, v22, v3
	v_sub_f16_e32 v12, v7, v12
	;; [unrolled: 1-line block ×8, first 2 shown]
	v_fmac_f16_e32 v5, 0xb9a8, v34
	v_fmac_f16_e32 v56, 0xb9a8, v38
	;; [unrolled: 1-line block ×4, first 2 shown]
	v_fmamk_f16 v33, v11, 0xb9a8, v8
	v_fmamk_f16 v34, v23, 0xb9a8, v13
	;; [unrolled: 1-line block ×4, first 2 shown]
	v_sub_f16_e32 v60, v3, v12
	v_sub_f16_e32 v61, v0, v24
	v_add_f16_e32 v62, v17, v2
	v_add_f16_e32 v63, v1, v10
	v_fma_f16 v22, v22, 2.0, -v3
	v_fma_f16 v1, v37, 2.0, -v1
	;; [unrolled: 1-line block ×9, first 2 shown]
	v_fmac_f16_e32 v33, 0xb9a8, v14
	v_fmac_f16_e32 v34, 0xb9a8, v25
	;; [unrolled: 1-line block ×4, first 2 shown]
	v_fmamk_f16 v14, v56, 0x3b64, v5
	v_fmamk_f16 v23, v57, 0x3b64, v58
	;; [unrolled: 1-line block ×4, first 2 shown]
	v_fma_f16 v3, v3, 2.0, -v60
	v_fma_f16 v0, v0, 2.0, -v61
	;; [unrolled: 1-line block ×4, first 2 shown]
	v_sub_f16_e32 v1, v22, v1
	v_sub_f16_e32 v4, v37, v4
	;; [unrolled: 1-line block ×4, first 2 shown]
	v_fma_f16 v28, v39, 2.0, -v57
	v_fmac_f16_e32 v14, 0xb61f, v57
	v_fmac_f16_e32 v23, 0x361f, v56
	;; [unrolled: 1-line block ×4, first 2 shown]
	v_fmamk_f16 v56, v0, 0xb9a8, v3
	v_fmamk_f16 v57, v11, 0xb9a8, v10
	v_sub_f16_e32 v61, v1, v4
	v_add_f16_e32 v62, v7, v2
	v_fma_f16 v8, v8, 2.0, -v33
	v_fma_f16 v13, v13, 2.0, -v34
	;; [unrolled: 1-line block ×10, first 2 shown]
	v_fmac_f16_e32 v56, 0xb9a8, v11
	v_fmac_f16_e32 v57, 0x39a8, v0
	v_fma_f16 v0, v1, 2.0, -v61
	v_fma_f16 v1, v7, 2.0, -v62
	v_fmamk_f16 v7, v13, 0xbb64, v8
	v_fmamk_f16 v11, v26, 0xbb64, v27
	;; [unrolled: 1-line block ×6, first 2 shown]
	v_sub_f16_e32 v2, v22, v2
	v_sub_f16_e32 v4, v6, v4
	v_fmac_f16_e32 v7, 0xb61f, v26
	v_fmac_f16_e32 v11, 0x361f, v13
	;; [unrolled: 1-line block ×6, first 2 shown]
	v_fma_f16 v13, v22, 2.0, -v2
	v_fma_f16 v6, v6, 2.0, -v4
	;; [unrolled: 1-line block ×14, first 2 shown]
	v_pack_b32_f16 v6, v13, v6
	v_pack_b32_f16 v8, v8, v22
	;; [unrolled: 1-line block ×8, first 2 shown]
	s_clause 0x6
	global_store_b32 v[15:16], v6, off
	global_store_b32 v[20:21], v8, off
	;; [unrolled: 1-line block ×7, first 2 shown]
	v_add_co_u32 v0, vcc_lo, v18, v53
	v_pack_b32_f16 v2, v2, v4
	s_wait_alu 0xfffd
	v_add_co_ci_u32_e32 v1, vcc_lo, v31, v54, vcc_lo
	v_pack_b32_f16 v3, v7, v11
	v_add_nc_u32_e32 v8, 0x3a7, v19
	v_add_nc_u32_e32 v10, 0x3fc, v19
	v_add_nc_u32_e32 v12, 0x451, v19
	s_clause 0x2
	global_store_b32 v[49:50], v5, off
	global_store_b32 v[51:52], v2, off
	;; [unrolled: 1-line block ×3, first 2 shown]
	v_mad_co_u64_u32 v[2:3], null, s16, v8, 0
	v_mad_co_u64_u32 v[4:5], null, s16, v10, 0
	;; [unrolled: 1-line block ×3, first 2 shown]
	v_dual_mov_b32 v60, v71 :: v_dual_add_nc_u32 v15, 0x4a6, v19
	v_pack_b32_f16 v13, v56, v57
	s_delay_alu instid0(VALU_DEP_4) | instskip(NEXT) | instid1(VALU_DEP_3)
	v_mad_co_u64_u32 v[8:9], null, s17, v8, v[3:4]
	v_lshlrev_b64_e32 v[0:1], 2, v[59:60]
	v_mad_co_u64_u32 v[9:10], null, s17, v10, v[5:6]
	v_mov_b32_e32 v5, v7
	v_mad_co_u64_u32 v[10:11], null, s16, v15, 0
	s_delay_alu instid0(VALU_DEP_4) | instskip(SKIP_1) | instid1(VALU_DEP_4)
	v_add_co_u32 v0, vcc_lo, v18, v0
	v_mov_b32_e32 v3, v8
	v_mad_co_u64_u32 v[7:8], null, s17, v12, v[5:6]
	v_add_nc_u32_e32 v12, 0x4fb, v19
	s_wait_alu 0xfffd
	v_add_co_ci_u32_e32 v1, vcc_lo, v31, v1, vcc_lo
	v_mov_b32_e32 v5, v9
	s_delay_alu instid0(VALU_DEP_3)
	v_mad_co_u64_u32 v[8:9], null, s16, v12, 0
	global_store_b32 v[0:1], v13, off
	v_lshlrev_b64_e32 v[0:1], 2, v[2:3]
	v_mov_b32_e32 v2, v11
	v_lshlrev_b64_e32 v[4:5], 2, v[4:5]
	v_lshlrev_b64_e32 v[6:7], 2, v[6:7]
	s_delay_alu instid0(VALU_DEP_3) | instskip(SKIP_4) | instid1(VALU_DEP_3)
	v_mad_co_u64_u32 v[2:3], null, s17, v15, v[2:3]
	v_mov_b32_e32 v3, v9
	v_add_co_u32 v0, vcc_lo, v18, v0
	s_wait_alu 0xfffd
	v_add_co_ci_u32_e32 v1, vcc_lo, v31, v1, vcc_lo
	v_mad_co_u64_u32 v[12:13], null, s17, v12, v[3:4]
	v_mov_b32_e32 v11, v2
	v_add_co_u32 v2, vcc_lo, v18, v4
	s_wait_alu 0xfffd
	v_add_co_ci_u32_e32 v3, vcc_lo, v31, v5, vcc_lo
	s_delay_alu instid0(VALU_DEP_3) | instskip(SKIP_4) | instid1(VALU_DEP_3)
	v_lshlrev_b64_e32 v[4:5], 2, v[10:11]
	v_mov_b32_e32 v9, v12
	v_add_co_u32 v6, vcc_lo, v18, v6
	s_wait_alu 0xfffd
	v_add_co_ci_u32_e32 v7, vcc_lo, v31, v7, vcc_lo
	v_lshlrev_b64_e32 v[8:9], 2, v[8:9]
	v_add_co_u32 v4, vcc_lo, v18, v4
	v_pack_b32_f16 v15, v17, v39
	v_pack_b32_f16 v13, v61, v62
	s_wait_alu 0xfffd
	v_add_co_ci_u32_e32 v5, vcc_lo, v31, v5, vcc_lo
	v_pack_b32_f16 v10, v40, v55
	v_add_co_u32 v8, vcc_lo, v18, v8
	v_pack_b32_f16 v11, v25, v35
	s_wait_alu 0xfffd
	v_add_co_ci_u32_e32 v9, vcc_lo, v31, v9, vcc_lo
	v_pack_b32_f16 v12, v14, v23
	s_clause 0x4
	global_store_b32 v[0:1], v15, off
	global_store_b32 v[2:3], v13, off
	;; [unrolled: 1-line block ×5, first 2 shown]
.LBB0_26:
	s_nop 0
	s_sendmsg sendmsg(MSG_DEALLOC_VGPRS)
	s_endpgm
	.section	.rodata,"a",@progbits
	.p2align	6, 0x0
	.amdhsa_kernel fft_rtc_fwd_len1360_factors_17_5_16_wgs_255_tpt_85_halfLds_half_op_CI_CI_sbrr_dirReg
		.amdhsa_group_segment_fixed_size 0
		.amdhsa_private_segment_fixed_size 0
		.amdhsa_kernarg_size 104
		.amdhsa_user_sgpr_count 2
		.amdhsa_user_sgpr_dispatch_ptr 0
		.amdhsa_user_sgpr_queue_ptr 0
		.amdhsa_user_sgpr_kernarg_segment_ptr 1
		.amdhsa_user_sgpr_dispatch_id 0
		.amdhsa_user_sgpr_private_segment_size 0
		.amdhsa_wavefront_size32 1
		.amdhsa_uses_dynamic_stack 0
		.amdhsa_enable_private_segment 0
		.amdhsa_system_sgpr_workgroup_id_x 1
		.amdhsa_system_sgpr_workgroup_id_y 0
		.amdhsa_system_sgpr_workgroup_id_z 0
		.amdhsa_system_sgpr_workgroup_info 0
		.amdhsa_system_vgpr_workitem_id 0
		.amdhsa_next_free_vgpr 102
		.amdhsa_next_free_sgpr 43
		.amdhsa_reserve_vcc 1
		.amdhsa_float_round_mode_32 0
		.amdhsa_float_round_mode_16_64 0
		.amdhsa_float_denorm_mode_32 3
		.amdhsa_float_denorm_mode_16_64 3
		.amdhsa_fp16_overflow 0
		.amdhsa_workgroup_processor_mode 1
		.amdhsa_memory_ordered 1
		.amdhsa_forward_progress 0
		.amdhsa_round_robin_scheduling 0
		.amdhsa_exception_fp_ieee_invalid_op 0
		.amdhsa_exception_fp_denorm_src 0
		.amdhsa_exception_fp_ieee_div_zero 0
		.amdhsa_exception_fp_ieee_overflow 0
		.amdhsa_exception_fp_ieee_underflow 0
		.amdhsa_exception_fp_ieee_inexact 0
		.amdhsa_exception_int_div_zero 0
	.end_amdhsa_kernel
	.text
.Lfunc_end0:
	.size	fft_rtc_fwd_len1360_factors_17_5_16_wgs_255_tpt_85_halfLds_half_op_CI_CI_sbrr_dirReg, .Lfunc_end0-fft_rtc_fwd_len1360_factors_17_5_16_wgs_255_tpt_85_halfLds_half_op_CI_CI_sbrr_dirReg
                                        ; -- End function
	.section	.AMDGPU.csdata,"",@progbits
; Kernel info:
; codeLenInByte = 14016
; NumSgprs: 45
; NumVgprs: 102
; ScratchSize: 0
; MemoryBound: 0
; FloatMode: 240
; IeeeMode: 1
; LDSByteSize: 0 bytes/workgroup (compile time only)
; SGPRBlocks: 5
; VGPRBlocks: 12
; NumSGPRsForWavesPerEU: 45
; NumVGPRsForWavesPerEU: 102
; Occupancy: 12
; WaveLimiterHint : 1
; COMPUTE_PGM_RSRC2:SCRATCH_EN: 0
; COMPUTE_PGM_RSRC2:USER_SGPR: 2
; COMPUTE_PGM_RSRC2:TRAP_HANDLER: 0
; COMPUTE_PGM_RSRC2:TGID_X_EN: 1
; COMPUTE_PGM_RSRC2:TGID_Y_EN: 0
; COMPUTE_PGM_RSRC2:TGID_Z_EN: 0
; COMPUTE_PGM_RSRC2:TIDIG_COMP_CNT: 0
	.text
	.p2alignl 7, 3214868480
	.fill 96, 4, 3214868480
	.type	__hip_cuid_fe196465cce06b11,@object ; @__hip_cuid_fe196465cce06b11
	.section	.bss,"aw",@nobits
	.globl	__hip_cuid_fe196465cce06b11
__hip_cuid_fe196465cce06b11:
	.byte	0                               ; 0x0
	.size	__hip_cuid_fe196465cce06b11, 1

	.ident	"AMD clang version 19.0.0git (https://github.com/RadeonOpenCompute/llvm-project roc-6.4.0 25133 c7fe45cf4b819c5991fe208aaa96edf142730f1d)"
	.section	".note.GNU-stack","",@progbits
	.addrsig
	.addrsig_sym __hip_cuid_fe196465cce06b11
	.amdgpu_metadata
---
amdhsa.kernels:
  - .args:
      - .actual_access:  read_only
        .address_space:  global
        .offset:         0
        .size:           8
        .value_kind:     global_buffer
      - .offset:         8
        .size:           8
        .value_kind:     by_value
      - .actual_access:  read_only
        .address_space:  global
        .offset:         16
        .size:           8
        .value_kind:     global_buffer
      - .actual_access:  read_only
        .address_space:  global
        .offset:         24
        .size:           8
        .value_kind:     global_buffer
      - .actual_access:  read_only
        .address_space:  global
        .offset:         32
        .size:           8
        .value_kind:     global_buffer
      - .offset:         40
        .size:           8
        .value_kind:     by_value
      - .actual_access:  read_only
        .address_space:  global
        .offset:         48
        .size:           8
        .value_kind:     global_buffer
      - .actual_access:  read_only
        .address_space:  global
        .offset:         56
        .size:           8
        .value_kind:     global_buffer
      - .offset:         64
        .size:           4
        .value_kind:     by_value
      - .actual_access:  read_only
        .address_space:  global
        .offset:         72
        .size:           8
        .value_kind:     global_buffer
      - .actual_access:  read_only
        .address_space:  global
        .offset:         80
        .size:           8
        .value_kind:     global_buffer
      - .actual_access:  read_only
        .address_space:  global
        .offset:         88
        .size:           8
        .value_kind:     global_buffer
      - .actual_access:  write_only
        .address_space:  global
        .offset:         96
        .size:           8
        .value_kind:     global_buffer
    .group_segment_fixed_size: 0
    .kernarg_segment_align: 8
    .kernarg_segment_size: 104
    .language:       OpenCL C
    .language_version:
      - 2
      - 0
    .max_flat_workgroup_size: 255
    .name:           fft_rtc_fwd_len1360_factors_17_5_16_wgs_255_tpt_85_halfLds_half_op_CI_CI_sbrr_dirReg
    .private_segment_fixed_size: 0
    .sgpr_count:     45
    .sgpr_spill_count: 0
    .symbol:         fft_rtc_fwd_len1360_factors_17_5_16_wgs_255_tpt_85_halfLds_half_op_CI_CI_sbrr_dirReg.kd
    .uniform_work_group_size: 1
    .uses_dynamic_stack: false
    .vgpr_count:     102
    .vgpr_spill_count: 0
    .wavefront_size: 32
    .workgroup_processor_mode: 1
amdhsa.target:   amdgcn-amd-amdhsa--gfx1201
amdhsa.version:
  - 1
  - 2
...

	.end_amdgpu_metadata
